;; amdgpu-corpus repo=ROCm/rocFFT kind=compiled arch=gfx1201 opt=O3
	.text
	.amdgcn_target "amdgcn-amd-amdhsa--gfx1201"
	.amdhsa_code_object_version 6
	.protected	fft_rtc_back_len2700_factors_3_10_10_3_3_wgs_90_tpt_90_halfLds_half_op_CI_CI_unitstride_sbrr_C2R_dirReg ; -- Begin function fft_rtc_back_len2700_factors_3_10_10_3_3_wgs_90_tpt_90_halfLds_half_op_CI_CI_unitstride_sbrr_C2R_dirReg
	.globl	fft_rtc_back_len2700_factors_3_10_10_3_3_wgs_90_tpt_90_halfLds_half_op_CI_CI_unitstride_sbrr_C2R_dirReg
	.p2align	8
	.type	fft_rtc_back_len2700_factors_3_10_10_3_3_wgs_90_tpt_90_halfLds_half_op_CI_CI_unitstride_sbrr_C2R_dirReg,@function
fft_rtc_back_len2700_factors_3_10_10_3_3_wgs_90_tpt_90_halfLds_half_op_CI_CI_unitstride_sbrr_C2R_dirReg: ; @fft_rtc_back_len2700_factors_3_10_10_3_3_wgs_90_tpt_90_halfLds_half_op_CI_CI_unitstride_sbrr_C2R_dirReg
; %bb.0:
	s_clause 0x2
	s_load_b128 s[8:11], s[0:1], 0x0
	s_load_b128 s[4:7], s[0:1], 0x58
	;; [unrolled: 1-line block ×3, first 2 shown]
	v_mul_u32_u24_e32 v1, 0x2d9, v0
	v_mov_b32_e32 v3, 0
	s_delay_alu instid0(VALU_DEP_2) | instskip(NEXT) | instid1(VALU_DEP_1)
	v_lshrrev_b32_e32 v1, 16, v1
	v_add_nc_u32_e32 v5, ttmp9, v1
	v_mov_b32_e32 v1, 0
	v_mov_b32_e32 v2, 0
	;; [unrolled: 1-line block ×3, first 2 shown]
	s_wait_kmcnt 0x0
	v_cmp_lt_u64_e64 s2, s[10:11], 2
	s_delay_alu instid0(VALU_DEP_1)
	s_and_b32 vcc_lo, exec_lo, s2
	s_cbranch_vccnz .LBB0_8
; %bb.1:
	s_load_b64 s[2:3], s[0:1], 0x10
	v_mov_b32_e32 v1, 0
	v_mov_b32_e32 v2, 0
	s_add_nc_u64 s[16:17], s[14:15], 8
	s_add_nc_u64 s[18:19], s[12:13], 8
	s_mov_b64 s[20:21], 1
	s_delay_alu instid0(VALU_DEP_1)
	v_dual_mov_b32 v27, v2 :: v_dual_mov_b32 v26, v1
	s_wait_kmcnt 0x0
	s_add_nc_u64 s[22:23], s[2:3], 8
	s_mov_b32 s3, 0
.LBB0_2:                                ; =>This Inner Loop Header: Depth=1
	s_load_b64 s[24:25], s[22:23], 0x0
                                        ; implicit-def: $vgpr28_vgpr29
	s_mov_b32 s2, exec_lo
	s_wait_kmcnt 0x0
	v_or_b32_e32 v4, s25, v6
	s_delay_alu instid0(VALU_DEP_1)
	v_cmpx_ne_u64_e32 0, v[3:4]
	s_wait_alu 0xfffe
	s_xor_b32 s26, exec_lo, s2
	s_cbranch_execz .LBB0_4
; %bb.3:                                ;   in Loop: Header=BB0_2 Depth=1
	s_cvt_f32_u32 s2, s24
	s_cvt_f32_u32 s27, s25
	s_sub_nc_u64 s[30:31], 0, s[24:25]
	s_wait_alu 0xfffe
	s_delay_alu instid0(SALU_CYCLE_1) | instskip(SKIP_1) | instid1(SALU_CYCLE_2)
	s_fmamk_f32 s2, s27, 0x4f800000, s2
	s_wait_alu 0xfffe
	v_s_rcp_f32 s2, s2
	s_delay_alu instid0(TRANS32_DEP_1) | instskip(SKIP_1) | instid1(SALU_CYCLE_2)
	s_mul_f32 s2, s2, 0x5f7ffffc
	s_wait_alu 0xfffe
	s_mul_f32 s27, s2, 0x2f800000
	s_wait_alu 0xfffe
	s_delay_alu instid0(SALU_CYCLE_2) | instskip(SKIP_1) | instid1(SALU_CYCLE_2)
	s_trunc_f32 s27, s27
	s_wait_alu 0xfffe
	s_fmamk_f32 s2, s27, 0xcf800000, s2
	s_cvt_u32_f32 s29, s27
	s_wait_alu 0xfffe
	s_delay_alu instid0(SALU_CYCLE_1) | instskip(SKIP_1) | instid1(SALU_CYCLE_2)
	s_cvt_u32_f32 s28, s2
	s_wait_alu 0xfffe
	s_mul_u64 s[34:35], s[30:31], s[28:29]
	s_wait_alu 0xfffe
	s_mul_hi_u32 s37, s28, s35
	s_mul_i32 s36, s28, s35
	s_mul_hi_u32 s2, s28, s34
	s_mul_i32 s33, s29, s34
	s_wait_alu 0xfffe
	s_add_nc_u64 s[36:37], s[2:3], s[36:37]
	s_mul_hi_u32 s27, s29, s34
	s_mul_hi_u32 s38, s29, s35
	s_add_co_u32 s2, s36, s33
	s_wait_alu 0xfffe
	s_add_co_ci_u32 s2, s37, s27
	s_mul_i32 s34, s29, s35
	s_add_co_ci_u32 s35, s38, 0
	s_wait_alu 0xfffe
	s_add_nc_u64 s[34:35], s[2:3], s[34:35]
	s_wait_alu 0xfffe
	v_add_co_u32 v4, s2, s28, s34
	s_delay_alu instid0(VALU_DEP_1) | instskip(SKIP_1) | instid1(VALU_DEP_1)
	s_cmp_lg_u32 s2, 0
	s_add_co_ci_u32 s29, s29, s35
	v_readfirstlane_b32 s28, v4
	s_wait_alu 0xfffe
	s_delay_alu instid0(VALU_DEP_1)
	s_mul_u64 s[30:31], s[30:31], s[28:29]
	s_wait_alu 0xfffe
	s_mul_hi_u32 s35, s28, s31
	s_mul_i32 s34, s28, s31
	s_mul_hi_u32 s2, s28, s30
	s_mul_i32 s33, s29, s30
	s_wait_alu 0xfffe
	s_add_nc_u64 s[34:35], s[2:3], s[34:35]
	s_mul_hi_u32 s27, s29, s30
	s_mul_hi_u32 s28, s29, s31
	s_wait_alu 0xfffe
	s_add_co_u32 s2, s34, s33
	s_add_co_ci_u32 s2, s35, s27
	s_mul_i32 s30, s29, s31
	s_add_co_ci_u32 s31, s28, 0
	s_wait_alu 0xfffe
	s_add_nc_u64 s[30:31], s[2:3], s[30:31]
	s_wait_alu 0xfffe
	v_add_co_u32 v4, s2, v4, s30
	s_delay_alu instid0(VALU_DEP_1) | instskip(SKIP_1) | instid1(VALU_DEP_1)
	s_cmp_lg_u32 s2, 0
	s_add_co_ci_u32 s2, s29, s31
	v_mul_hi_u32 v13, v5, v4
	s_wait_alu 0xfffe
	v_mad_co_u64_u32 v[7:8], null, v5, s2, 0
	v_mad_co_u64_u32 v[9:10], null, v6, v4, 0
	;; [unrolled: 1-line block ×3, first 2 shown]
	s_delay_alu instid0(VALU_DEP_3) | instskip(SKIP_1) | instid1(VALU_DEP_4)
	v_add_co_u32 v4, vcc_lo, v13, v7
	s_wait_alu 0xfffd
	v_add_co_ci_u32_e32 v7, vcc_lo, 0, v8, vcc_lo
	s_delay_alu instid0(VALU_DEP_2) | instskip(SKIP_1) | instid1(VALU_DEP_2)
	v_add_co_u32 v4, vcc_lo, v4, v9
	s_wait_alu 0xfffd
	v_add_co_ci_u32_e32 v4, vcc_lo, v7, v10, vcc_lo
	s_wait_alu 0xfffd
	v_add_co_ci_u32_e32 v7, vcc_lo, 0, v12, vcc_lo
	s_delay_alu instid0(VALU_DEP_2) | instskip(SKIP_1) | instid1(VALU_DEP_2)
	v_add_co_u32 v4, vcc_lo, v4, v11
	s_wait_alu 0xfffd
	v_add_co_ci_u32_e32 v9, vcc_lo, 0, v7, vcc_lo
	s_delay_alu instid0(VALU_DEP_2) | instskip(SKIP_1) | instid1(VALU_DEP_3)
	v_mul_lo_u32 v10, s25, v4
	v_mad_co_u64_u32 v[7:8], null, s24, v4, 0
	v_mul_lo_u32 v11, s24, v9
	s_delay_alu instid0(VALU_DEP_2) | instskip(NEXT) | instid1(VALU_DEP_2)
	v_sub_co_u32 v7, vcc_lo, v5, v7
	v_add3_u32 v8, v8, v11, v10
	s_delay_alu instid0(VALU_DEP_1) | instskip(SKIP_1) | instid1(VALU_DEP_1)
	v_sub_nc_u32_e32 v10, v6, v8
	s_wait_alu 0xfffd
	v_subrev_co_ci_u32_e64 v10, s2, s25, v10, vcc_lo
	v_add_co_u32 v11, s2, v4, 2
	s_wait_alu 0xf1ff
	v_add_co_ci_u32_e64 v12, s2, 0, v9, s2
	v_sub_co_u32 v13, s2, v7, s24
	v_sub_co_ci_u32_e32 v8, vcc_lo, v6, v8, vcc_lo
	s_wait_alu 0xf1ff
	v_subrev_co_ci_u32_e64 v10, s2, 0, v10, s2
	s_delay_alu instid0(VALU_DEP_3) | instskip(NEXT) | instid1(VALU_DEP_3)
	v_cmp_le_u32_e32 vcc_lo, s24, v13
	v_cmp_eq_u32_e64 s2, s25, v8
	s_wait_alu 0xfffd
	v_cndmask_b32_e64 v13, 0, -1, vcc_lo
	v_cmp_le_u32_e32 vcc_lo, s25, v10
	s_wait_alu 0xfffd
	v_cndmask_b32_e64 v14, 0, -1, vcc_lo
	v_cmp_le_u32_e32 vcc_lo, s24, v7
	;; [unrolled: 3-line block ×3, first 2 shown]
	s_wait_alu 0xfffd
	v_cndmask_b32_e64 v15, 0, -1, vcc_lo
	v_cmp_eq_u32_e32 vcc_lo, s25, v10
	s_wait_alu 0xf1ff
	s_delay_alu instid0(VALU_DEP_2)
	v_cndmask_b32_e64 v7, v15, v7, s2
	s_wait_alu 0xfffd
	v_cndmask_b32_e32 v10, v14, v13, vcc_lo
	v_add_co_u32 v13, vcc_lo, v4, 1
	s_wait_alu 0xfffd
	v_add_co_ci_u32_e32 v14, vcc_lo, 0, v9, vcc_lo
	s_delay_alu instid0(VALU_DEP_3) | instskip(SKIP_1) | instid1(VALU_DEP_2)
	v_cmp_ne_u32_e32 vcc_lo, 0, v10
	s_wait_alu 0xfffd
	v_cndmask_b32_e32 v8, v14, v12, vcc_lo
	v_cndmask_b32_e32 v10, v13, v11, vcc_lo
	v_cmp_ne_u32_e32 vcc_lo, 0, v7
	s_wait_alu 0xfffd
	s_delay_alu instid0(VALU_DEP_2)
	v_dual_cndmask_b32 v29, v9, v8 :: v_dual_cndmask_b32 v28, v4, v10
.LBB0_4:                                ;   in Loop: Header=BB0_2 Depth=1
	s_wait_alu 0xfffe
	s_and_not1_saveexec_b32 s2, s26
	s_cbranch_execz .LBB0_6
; %bb.5:                                ;   in Loop: Header=BB0_2 Depth=1
	v_cvt_f32_u32_e32 v4, s24
	s_sub_co_i32 s26, 0, s24
	v_mov_b32_e32 v29, v3
	s_delay_alu instid0(VALU_DEP_2) | instskip(NEXT) | instid1(TRANS32_DEP_1)
	v_rcp_iflag_f32_e32 v4, v4
	v_mul_f32_e32 v4, 0x4f7ffffe, v4
	s_delay_alu instid0(VALU_DEP_1) | instskip(SKIP_1) | instid1(VALU_DEP_1)
	v_cvt_u32_f32_e32 v4, v4
	s_wait_alu 0xfffe
	v_mul_lo_u32 v7, s26, v4
	s_delay_alu instid0(VALU_DEP_1) | instskip(NEXT) | instid1(VALU_DEP_1)
	v_mul_hi_u32 v7, v4, v7
	v_add_nc_u32_e32 v4, v4, v7
	s_delay_alu instid0(VALU_DEP_1) | instskip(NEXT) | instid1(VALU_DEP_1)
	v_mul_hi_u32 v4, v5, v4
	v_mul_lo_u32 v7, v4, s24
	v_add_nc_u32_e32 v8, 1, v4
	s_delay_alu instid0(VALU_DEP_2) | instskip(NEXT) | instid1(VALU_DEP_1)
	v_sub_nc_u32_e32 v7, v5, v7
	v_subrev_nc_u32_e32 v9, s24, v7
	v_cmp_le_u32_e32 vcc_lo, s24, v7
	s_wait_alu 0xfffd
	s_delay_alu instid0(VALU_DEP_2) | instskip(NEXT) | instid1(VALU_DEP_1)
	v_dual_cndmask_b32 v7, v7, v9 :: v_dual_cndmask_b32 v4, v4, v8
	v_cmp_le_u32_e32 vcc_lo, s24, v7
	s_delay_alu instid0(VALU_DEP_2) | instskip(SKIP_1) | instid1(VALU_DEP_1)
	v_add_nc_u32_e32 v8, 1, v4
	s_wait_alu 0xfffd
	v_cndmask_b32_e32 v28, v4, v8, vcc_lo
.LBB0_6:                                ;   in Loop: Header=BB0_2 Depth=1
	s_wait_alu 0xfffe
	s_or_b32 exec_lo, exec_lo, s2
	v_mul_lo_u32 v4, v29, s24
	s_delay_alu instid0(VALU_DEP_2)
	v_mul_lo_u32 v9, v28, s25
	s_load_b64 s[26:27], s[18:19], 0x0
	v_mad_co_u64_u32 v[7:8], null, v28, s24, 0
	s_load_b64 s[24:25], s[16:17], 0x0
	s_add_nc_u64 s[20:21], s[20:21], 1
	s_add_nc_u64 s[16:17], s[16:17], 8
	s_wait_alu 0xfffe
	v_cmp_ge_u64_e64 s2, s[20:21], s[10:11]
	s_add_nc_u64 s[18:19], s[18:19], 8
	s_add_nc_u64 s[22:23], s[22:23], 8
	v_add3_u32 v4, v8, v9, v4
	v_sub_co_u32 v5, vcc_lo, v5, v7
	s_wait_alu 0xfffd
	s_delay_alu instid0(VALU_DEP_2) | instskip(SKIP_2) | instid1(VALU_DEP_1)
	v_sub_co_ci_u32_e32 v4, vcc_lo, v6, v4, vcc_lo
	s_and_b32 vcc_lo, exec_lo, s2
	s_wait_kmcnt 0x0
	v_mul_lo_u32 v6, s26, v4
	v_mul_lo_u32 v7, s27, v5
	v_mad_co_u64_u32 v[1:2], null, s26, v5, v[1:2]
	v_mul_lo_u32 v4, s24, v4
	v_mul_lo_u32 v8, s25, v5
	v_mad_co_u64_u32 v[26:27], null, s24, v5, v[26:27]
	s_delay_alu instid0(VALU_DEP_4) | instskip(NEXT) | instid1(VALU_DEP_2)
	v_add3_u32 v2, v7, v2, v6
	v_add3_u32 v27, v8, v27, v4
	s_wait_alu 0xfffe
	s_cbranch_vccnz .LBB0_9
; %bb.7:                                ;   in Loop: Header=BB0_2 Depth=1
	v_dual_mov_b32 v5, v28 :: v_dual_mov_b32 v6, v29
	s_branch .LBB0_2
.LBB0_8:
	v_dual_mov_b32 v27, v2 :: v_dual_mov_b32 v26, v1
	v_dual_mov_b32 v29, v6 :: v_dual_mov_b32 v28, v5
.LBB0_9:
	s_load_b64 s[0:1], s[0:1], 0x28
	v_mul_hi_u32 v3, 0x2d82d83, v0
	s_lshl_b64 s[10:11], s[10:11], 3
                                        ; implicit-def: $vgpr24
	s_wait_alu 0xfffe
	s_add_nc_u64 s[2:3], s[14:15], s[10:11]
	s_wait_kmcnt 0x0
	v_cmp_gt_u64_e32 vcc_lo, s[0:1], v[28:29]
	v_cmp_le_u64_e64 s0, s[0:1], v[28:29]
	s_delay_alu instid0(VALU_DEP_1)
	s_and_saveexec_b32 s1, s0
	s_wait_alu 0xfffe
	s_xor_b32 s0, exec_lo, s1
; %bb.10:
	v_mul_u32_u24_e32 v1, 0x5a, v3
                                        ; implicit-def: $vgpr3
	s_delay_alu instid0(VALU_DEP_1)
	v_sub_nc_u32_e32 v24, v0, v1
                                        ; implicit-def: $vgpr0
                                        ; implicit-def: $vgpr1_vgpr2
; %bb.11:
	s_wait_alu 0xfffe
	s_or_saveexec_b32 s1, s0
	s_load_b64 s[2:3], s[2:3], 0x0
	s_xor_b32 exec_lo, exec_lo, s1
	s_cbranch_execz .LBB0_15
; %bb.12:
	s_add_nc_u64 s[10:11], s[12:13], s[10:11]
	v_lshlrev_b64_e32 v[1:2], 2, v[1:2]
	s_load_b64 s[10:11], s[10:11], 0x0
	s_wait_kmcnt 0x0
	v_mul_lo_u32 v6, s11, v28
	v_mul_lo_u32 v7, s10, v29
	v_mad_co_u64_u32 v[4:5], null, s10, v28, 0
	s_delay_alu instid0(VALU_DEP_1) | instskip(SKIP_1) | instid1(VALU_DEP_2)
	v_add3_u32 v5, v5, v7, v6
	v_mul_u32_u24_e32 v6, 0x5a, v3
	v_lshlrev_b64_e32 v[3:4], 2, v[4:5]
	s_delay_alu instid0(VALU_DEP_2) | instskip(NEXT) | instid1(VALU_DEP_2)
	v_sub_nc_u32_e32 v24, v0, v6
	v_add_co_u32 v0, s0, s4, v3
	s_wait_alu 0xf1ff
	s_delay_alu instid0(VALU_DEP_3) | instskip(NEXT) | instid1(VALU_DEP_3)
	v_add_co_ci_u32_e64 v3, s0, s5, v4, s0
	v_lshlrev_b32_e32 v4, 2, v24
	s_delay_alu instid0(VALU_DEP_3) | instskip(SKIP_1) | instid1(VALU_DEP_3)
	v_add_co_u32 v0, s0, v0, v1
	s_wait_alu 0xf1ff
	v_add_co_ci_u32_e64 v1, s0, v3, v2, s0
	s_delay_alu instid0(VALU_DEP_2) | instskip(SKIP_1) | instid1(VALU_DEP_2)
	v_add_co_u32 v2, s0, v0, v4
	s_wait_alu 0xf1ff
	v_add_co_ci_u32_e64 v3, s0, 0, v1, s0
	v_cmp_eq_u32_e64 s0, 0x59, v24
	s_clause 0x1d
	global_load_b32 v5, v[2:3], off
	global_load_b32 v6, v[2:3], off offset:360
	global_load_b32 v7, v[2:3], off offset:720
	;; [unrolled: 1-line block ×29, first 2 shown]
	v_add_nc_u32_e32 v3, 0, v4
	s_delay_alu instid0(VALU_DEP_1)
	v_add_nc_u32_e32 v4, 0x200, v3
	v_add_nc_u32_e32 v39, 0x400, v3
	v_add_nc_u32_e32 v40, 0x800, v3
	v_add_nc_u32_e32 v41, 0xa00, v3
	v_add_nc_u32_e32 v42, 0xc00, v3
	v_add_nc_u32_e32 v43, 0x1000, v3
	v_add_nc_u32_e32 v44, 0x1200, v3
	v_add_nc_u32_e32 v45, 0x1400, v3
	v_add_nc_u32_e32 v46, 0x1800, v3
	v_add_nc_u32_e32 v47, 0x1c00, v3
	v_add_nc_u32_e32 v48, 0x1e00, v3
	v_add_nc_u32_e32 v49, 0x2000, v3
	v_add_nc_u32_e32 v50, 0x2400, v3
	v_add_nc_u32_e32 v51, 0x2600, v3
	s_wait_loadcnt 0x1c
	ds_store_2addr_b32 v3, v5, v6 offset1:90
	s_wait_loadcnt 0x1a
	ds_store_2addr_b32 v4, v7, v8 offset0:52 offset1:142
	s_wait_loadcnt 0x18
	ds_store_2addr_b32 v39, v9, v10 offset0:104 offset1:194
	;; [unrolled: 2-line block ×14, first 2 shown]
	s_and_saveexec_b32 s4, s0
	s_cbranch_execz .LBB0_14
; %bb.13:
	global_load_b32 v0, v[0:1], off offset:10800
	v_dual_mov_b32 v1, 0 :: v_dual_mov_b32 v24, 0x59
	s_wait_loadcnt 0x0
	ds_store_b32 v1, v0 offset:10800
.LBB0_14:
	s_wait_alu 0xfffe
	s_or_b32 exec_lo, exec_lo, s4
.LBB0_15:
	s_delay_alu instid0(SALU_CYCLE_1)
	s_or_b32 exec_lo, exec_lo, s1
	v_lshlrev_b32_e32 v0, 2, v24
	global_wb scope:SCOPE_SE
	s_wait_dscnt 0x0
	s_wait_kmcnt 0x0
	s_barrier_signal -1
	s_barrier_wait -1
	global_inv scope:SCOPE_SE
	v_add_nc_u32_e32 v60, 0, v0
	v_sub_nc_u32_e32 v2, 0, v0
	s_mov_b32 s1, exec_lo
                                        ; implicit-def: $vgpr0_vgpr1
	ds_load_u16 v5, v60
	ds_load_u16 v6, v2 offset:10800
	s_wait_dscnt 0x0
	v_add_f16_e32 v4, v6, v5
	v_sub_f16_e32 v3, v5, v6
	v_cmpx_ne_u32_e32 0, v24
	s_wait_alu 0xfffe
	s_xor_b32 s1, exec_lo, s1
	s_cbranch_execz .LBB0_17
; %bb.16:
	v_mov_b32_e32 v25, 0
	v_add_f16_e32 v4, v6, v5
	v_sub_f16_e32 v5, v5, v6
	s_delay_alu instid0(VALU_DEP_3) | instskip(NEXT) | instid1(VALU_DEP_1)
	v_lshlrev_b64_e32 v[0:1], 2, v[24:25]
	v_add_co_u32 v0, s0, s8, v0
	s_wait_alu 0xf1ff
	s_delay_alu instid0(VALU_DEP_2)
	v_add_co_ci_u32_e64 v1, s0, s9, v1, s0
	global_load_b32 v0, v[0:1], off offset:10788
	ds_load_u16 v1, v2 offset:10802
	ds_load_u16 v3, v60 offset:2
	s_wait_dscnt 0x0
	v_add_f16_e32 v6, v1, v3
	v_sub_f16_e32 v1, v3, v1
	s_wait_loadcnt 0x0
	v_lshrrev_b32_e32 v7, 16, v0
	s_delay_alu instid0(VALU_DEP_1) | instskip(NEXT) | instid1(VALU_DEP_3)
	v_fma_f16 v8, -v5, v7, v4
	v_fma_f16 v9, v6, v7, -v1
	v_fma_f16 v3, v6, v7, v1
	v_fma_f16 v4, v5, v7, v4
	s_delay_alu instid0(VALU_DEP_4) | instskip(NEXT) | instid1(VALU_DEP_4)
	v_fmac_f16_e32 v8, v0, v6
	v_fmac_f16_e32 v9, v5, v0
	s_delay_alu instid0(VALU_DEP_4) | instskip(NEXT) | instid1(VALU_DEP_4)
	v_fmac_f16_e32 v3, v5, v0
	v_fma_f16 v4, -v0, v6, v4
	v_dual_mov_b32 v0, v24 :: v_dual_mov_b32 v1, v25
	s_delay_alu instid0(VALU_DEP_4)
	v_pack_b32_f16 v5, v8, v9
	ds_store_b32 v2, v5 offset:10800
.LBB0_17:
	s_wait_alu 0xfffe
	s_and_not1_saveexec_b32 s0, s1
	s_cbranch_execz .LBB0_19
; %bb.18:
	v_mov_b32_e32 v5, 0
	ds_load_b32 v0, v5 offset:5400
	s_wait_dscnt 0x0
	v_pk_mul_f16 v6, 0xc0004000, v0
	v_mov_b32_e32 v0, 0
	v_mov_b32_e32 v1, 0
	ds_store_b32 v5, v6 offset:5400
.LBB0_19:
	s_wait_alu 0xfffe
	s_or_b32 exec_lo, exec_lo, s0
	v_lshlrev_b64_e32 v[0:1], 2, v[0:1]
	s_add_nc_u64 s[0:1], s[8:9], 0x2a24
	v_perm_b32 v3, v3, v4, 0x5040100
	v_and_b32_e32 v33, 0xff, v24
	v_add_nc_u32_e32 v75, 0x5a, v24
	v_add_nc_u32_e32 v74, 0xb4, v24
	s_wait_alu 0xfffe
	v_add_co_u32 v0, s0, s0, v0
	s_wait_alu 0xf1ff
	v_add_co_ci_u32_e64 v1, s0, s1, v1, s0
	v_and_b32_e32 v36, 0xff, v75
	v_and_b32_e32 v31, 0xffff, v74
	v_add_nc_u32_e32 v25, 0xc00, v60
	s_clause 0x5
	global_load_b32 v5, v[0:1], off offset:360
	global_load_b32 v6, v[0:1], off offset:720
	;; [unrolled: 1-line block ×6, first 2 shown]
	ds_store_b32 v60, v3
	global_load_b32 v3, v[0:1], off offset:2520
	ds_load_b32 v4, v60 offset:360
	ds_load_b32 v11, v2 offset:10440
	global_load_b32 v14, v[0:1], off offset:2880
	v_add_nc_u32_e32 v61, 0x1c00, v60
	v_add_nc_u32_e32 v62, 0x200, v60
	;; [unrolled: 1-line block ×13, first 2 shown]
	s_wait_dscnt 0x1
	v_lshrrev_b32_e32 v12, 16, v4
	s_wait_dscnt 0x0
	v_lshrrev_b32_e32 v13, 16, v11
	v_add_f16_e32 v15, v4, v11
	v_sub_f16_e32 v4, v4, v11
	s_delay_alu instid0(VALU_DEP_3) | instskip(SKIP_3) | instid1(VALU_DEP_1)
	v_add_f16_e32 v11, v13, v12
	v_sub_f16_e32 v12, v12, v13
	s_wait_loadcnt 0x7
	v_lshrrev_b32_e32 v16, 16, v5
	v_fma_f16 v13, v4, v16, v15
	s_delay_alu instid0(VALU_DEP_3) | instskip(SKIP_2) | instid1(VALU_DEP_4)
	v_fma_f16 v17, v11, v16, v12
	v_fma_f16 v15, -v4, v16, v15
	v_fma_f16 v12, v11, v16, -v12
	v_fma_f16 v13, -v5, v11, v13
	s_delay_alu instid0(VALU_DEP_4) | instskip(NEXT) | instid1(VALU_DEP_4)
	v_fmac_f16_e32 v17, v4, v5
	v_fmac_f16_e32 v15, v5, v11
	s_delay_alu instid0(VALU_DEP_4) | instskip(NEXT) | instid1(VALU_DEP_3)
	v_fmac_f16_e32 v12, v4, v5
	v_pack_b32_f16 v4, v13, v17
	s_wait_loadcnt 0x6
	v_lshrrev_b32_e32 v13, 16, v6
	s_delay_alu instid0(VALU_DEP_3)
	v_pack_b32_f16 v5, v15, v12
	ds_store_b32 v60, v4 offset:360
	ds_store_b32 v2, v5 offset:10440
	ds_load_b32 v4, v60 offset:720
	ds_load_b32 v5, v2 offset:10080
	s_wait_dscnt 0x1
	v_lshrrev_b32_e32 v11, 16, v4
	s_wait_dscnt 0x0
	v_lshrrev_b32_e32 v12, 16, v5
	v_add_f16_e32 v15, v4, v5
	v_sub_f16_e32 v4, v4, v5
	s_delay_alu instid0(VALU_DEP_3) | instskip(SKIP_1) | instid1(VALU_DEP_3)
	v_add_f16_e32 v5, v12, v11
	v_sub_f16_e32 v11, v11, v12
	v_fma_f16 v12, v4, v13, v15
	v_fma_f16 v15, -v4, v13, v15
	s_delay_alu instid0(VALU_DEP_3) | instskip(SKIP_1) | instid1(VALU_DEP_4)
	v_fma_f16 v16, v5, v13, v11
	v_fma_f16 v11, v5, v13, -v11
	v_fma_f16 v12, -v6, v5, v12
	s_delay_alu instid0(VALU_DEP_4)
	v_fmac_f16_e32 v15, v6, v5
	s_wait_loadcnt 0x5
	v_lshrrev_b32_e32 v13, 16, v7
	v_fmac_f16_e32 v16, v4, v6
	v_fmac_f16_e32 v11, v4, v6
	global_load_b32 v6, v[0:1], off offset:3240
	v_pack_b32_f16 v4, v12, v16
	v_pack_b32_f16 v5, v15, v11
	ds_store_b32 v60, v4 offset:720
	ds_store_b32 v2, v5 offset:10080
	ds_load_b32 v4, v60 offset:1080
	ds_load_b32 v5, v2 offset:9720
	s_wait_dscnt 0x1
	v_lshrrev_b32_e32 v11, 16, v4
	s_wait_dscnt 0x0
	v_lshrrev_b32_e32 v12, 16, v5
	v_add_f16_e32 v15, v4, v5
	v_sub_f16_e32 v4, v4, v5
	s_delay_alu instid0(VALU_DEP_3) | instskip(SKIP_1) | instid1(VALU_DEP_3)
	v_add_f16_e32 v5, v12, v11
	v_sub_f16_e32 v11, v11, v12
	v_fma_f16 v12, v4, v13, v15
	v_fma_f16 v15, -v4, v13, v15
	s_delay_alu instid0(VALU_DEP_3) | instskip(SKIP_1) | instid1(VALU_DEP_4)
	v_fma_f16 v16, v5, v13, v11
	v_fma_f16 v11, v5, v13, -v11
	v_fma_f16 v12, -v7, v5, v12
	s_delay_alu instid0(VALU_DEP_4)
	v_fmac_f16_e32 v15, v7, v5
	s_wait_loadcnt 0x5
	v_lshrrev_b32_e32 v13, 16, v8
	v_fmac_f16_e32 v16, v4, v7
	v_fmac_f16_e32 v11, v4, v7
	global_load_b32 v7, v[0:1], off offset:3600
	v_pack_b32_f16 v4, v12, v16
	;; [unrolled: 28-line block ×5, first 2 shown]
	v_pack_b32_f16 v5, v15, v11
	ds_store_b32 v60, v4 offset:2160
	ds_store_b32 v2, v5 offset:8640
	ds_load_b32 v4, v60 offset:2520
	ds_load_b32 v5, v2 offset:8280
	global_load_b32 v1, v[0:1], off offset:5040
	s_wait_dscnt 0x1
	v_lshrrev_b32_e32 v11, 16, v4
	s_wait_dscnt 0x0
	v_lshrrev_b32_e32 v12, 16, v5
	v_add_f16_e32 v15, v4, v5
	v_sub_f16_e32 v4, v4, v5
	s_delay_alu instid0(VALU_DEP_3) | instskip(SKIP_1) | instid1(VALU_DEP_3)
	v_add_f16_e32 v5, v12, v11
	v_sub_f16_e32 v11, v11, v12
	v_fma_f16 v12, v4, v13, v15
	v_fma_f16 v15, -v4, v13, v15
	s_delay_alu instid0(VALU_DEP_3) | instskip(SKIP_1) | instid1(VALU_DEP_4)
	v_fma_f16 v16, v5, v13, v11
	v_fma_f16 v11, v5, v13, -v11
	v_fma_f16 v12, -v3, v5, v12
	s_delay_alu instid0(VALU_DEP_4) | instskip(NEXT) | instid1(VALU_DEP_4)
	v_fmac_f16_e32 v15, v3, v5
	v_fmac_f16_e32 v16, v4, v3
	s_delay_alu instid0(VALU_DEP_4) | instskip(NEXT) | instid1(VALU_DEP_2)
	v_fmac_f16_e32 v11, v4, v3
	v_pack_b32_f16 v3, v12, v16
	s_delay_alu instid0(VALU_DEP_2)
	v_pack_b32_f16 v4, v15, v11
	ds_store_b32 v60, v3 offset:2520
	ds_store_b32 v2, v4 offset:8280
	ds_load_b32 v0, v60 offset:2880
	ds_load_b32 v3, v2 offset:7920
	s_wait_loadcnt 0x6
	v_lshrrev_b32_e32 v11, 16, v14
	s_wait_dscnt 0x1
	v_lshrrev_b32_e32 v4, 16, v0
	s_wait_dscnt 0x0
	v_lshrrev_b32_e32 v5, 16, v3
	v_add_f16_e32 v12, v0, v3
	v_sub_f16_e32 v0, v0, v3
	s_delay_alu instid0(VALU_DEP_3) | instskip(SKIP_1) | instid1(VALU_DEP_3)
	v_add_f16_e32 v3, v5, v4
	v_sub_f16_e32 v4, v4, v5
	v_fma_f16 v5, v0, v11, v12
	v_fma_f16 v12, -v0, v11, v12
	s_delay_alu instid0(VALU_DEP_3) | instskip(SKIP_1) | instid1(VALU_DEP_4)
	v_fma_f16 v13, v3, v11, v4
	v_fma_f16 v4, v3, v11, -v4
	v_fma_f16 v5, -v14, v3, v5
	s_delay_alu instid0(VALU_DEP_4) | instskip(NEXT) | instid1(VALU_DEP_4)
	v_fmac_f16_e32 v12, v14, v3
	v_fmac_f16_e32 v13, v0, v14
	s_delay_alu instid0(VALU_DEP_4) | instskip(NEXT) | instid1(VALU_DEP_2)
	v_fmac_f16_e32 v4, v0, v14
	v_pack_b32_f16 v0, v5, v13
	s_delay_alu instid0(VALU_DEP_2)
	v_pack_b32_f16 v3, v12, v4
	ds_store_b32 v60, v0 offset:2880
	ds_store_b32 v2, v3 offset:7920
	ds_load_b32 v0, v60 offset:3240
	ds_load_b32 v3, v2 offset:7560
	s_wait_dscnt 0x1
	v_lshrrev_b32_e32 v4, 16, v0
	s_wait_dscnt 0x0
	v_lshrrev_b32_e32 v5, 16, v3
	v_add_f16_e32 v12, v0, v3
	v_sub_f16_e32 v0, v0, v3
	s_delay_alu instid0(VALU_DEP_3) | instskip(SKIP_3) | instid1(VALU_DEP_1)
	v_add_f16_e32 v3, v5, v4
	v_sub_f16_e32 v4, v4, v5
	s_wait_loadcnt 0x5
	v_lshrrev_b32_e32 v11, 16, v6
	v_fma_f16 v5, v0, v11, v12
	s_delay_alu instid0(VALU_DEP_3) | instskip(SKIP_2) | instid1(VALU_DEP_4)
	v_fma_f16 v13, v3, v11, v4
	v_fma_f16 v12, -v0, v11, v12
	v_fma_f16 v4, v3, v11, -v4
	v_fma_f16 v5, -v6, v3, v5
	s_delay_alu instid0(VALU_DEP_4) | instskip(NEXT) | instid1(VALU_DEP_4)
	v_fmac_f16_e32 v13, v0, v6
	v_fmac_f16_e32 v12, v6, v3
	s_delay_alu instid0(VALU_DEP_4) | instskip(NEXT) | instid1(VALU_DEP_3)
	v_fmac_f16_e32 v4, v0, v6
	v_pack_b32_f16 v0, v5, v13
	s_delay_alu instid0(VALU_DEP_2)
	v_pack_b32_f16 v3, v12, v4
	ds_store_b32 v60, v0 offset:3240
	ds_store_b32 v2, v3 offset:7560
	ds_load_b32 v0, v60 offset:3600
	ds_load_b32 v3, v2 offset:7200
	s_wait_dscnt 0x1
	v_lshrrev_b32_e32 v4, 16, v0
	s_wait_dscnt 0x0
	v_lshrrev_b32_e32 v5, 16, v3
	v_add_f16_e32 v11, v0, v3
	v_sub_f16_e32 v0, v0, v3
	s_wait_loadcnt 0x4
	v_lshrrev_b32_e32 v6, 16, v7
	v_add_f16_e32 v3, v5, v4
	v_sub_f16_e32 v4, v4, v5
	s_delay_alu instid0(VALU_DEP_3) | instskip(SKIP_1) | instid1(VALU_DEP_3)
	v_fma_f16 v5, v0, v6, v11
	v_fma_f16 v11, -v0, v6, v11
	v_fma_f16 v12, v3, v6, v4
	v_fma_f16 v4, v3, v6, -v4
	s_delay_alu instid0(VALU_DEP_4) | instskip(NEXT) | instid1(VALU_DEP_4)
	v_fma_f16 v5, -v7, v3, v5
	v_fmac_f16_e32 v11, v7, v3
	s_delay_alu instid0(VALU_DEP_4) | instskip(NEXT) | instid1(VALU_DEP_4)
	v_fmac_f16_e32 v12, v0, v7
	v_fmac_f16_e32 v4, v0, v7
	s_delay_alu instid0(VALU_DEP_2) | instskip(NEXT) | instid1(VALU_DEP_2)
	v_pack_b32_f16 v0, v5, v12
	v_pack_b32_f16 v3, v11, v4
	ds_store_b32 v60, v0 offset:3600
	ds_store_b32 v2, v3 offset:7200
	ds_load_b32 v0, v60 offset:3960
	ds_load_b32 v3, v2 offset:6840
	s_wait_dscnt 0x1
	v_lshrrev_b32_e32 v4, 16, v0
	s_wait_dscnt 0x0
	v_lshrrev_b32_e32 v5, 16, v3
	v_add_f16_e32 v7, v0, v3
	v_sub_f16_e32 v0, v0, v3
	s_wait_loadcnt 0x3
	v_lshrrev_b32_e32 v6, 16, v8
	v_add_f16_e32 v3, v5, v4
	v_sub_f16_e32 v4, v4, v5
	s_delay_alu instid0(VALU_DEP_3) | instskip(SKIP_1) | instid1(VALU_DEP_3)
	v_fma_f16 v5, v0, v6, v7
	v_fma_f16 v7, -v0, v6, v7
	v_fma_f16 v11, v3, v6, v4
	v_fma_f16 v4, v3, v6, -v4
	s_delay_alu instid0(VALU_DEP_4) | instskip(NEXT) | instid1(VALU_DEP_4)
	v_fma_f16 v5, -v8, v3, v5
	v_fmac_f16_e32 v7, v8, v3
	s_delay_alu instid0(VALU_DEP_4) | instskip(NEXT) | instid1(VALU_DEP_4)
	v_fmac_f16_e32 v11, v0, v8
	v_fmac_f16_e32 v4, v0, v8
	s_delay_alu instid0(VALU_DEP_2) | instskip(NEXT) | instid1(VALU_DEP_2)
	v_pack_b32_f16 v0, v5, v11
	v_pack_b32_f16 v3, v7, v4
	ds_store_b32 v60, v0 offset:3960
	ds_store_b32 v2, v3 offset:6840
	ds_load_b32 v0, v60 offset:4320
	ds_load_b32 v3, v2 offset:6480
	v_mul_u32_u24_e32 v11, 0xaaab, v31
	v_mul_u32_u24_e32 v31, 0x8889, v31
	s_delay_alu instid0(VALU_DEP_2)
	v_lshrrev_b32_e32 v32, 17, v11
	s_wait_dscnt 0x1
	v_lshrrev_b32_e32 v4, 16, v0
	s_wait_dscnt 0x0
	v_lshrrev_b32_e32 v5, 16, v3
	v_add_f16_e32 v7, v0, v3
	v_sub_f16_e32 v0, v0, v3
	s_wait_loadcnt 0x2
	v_lshrrev_b32_e32 v6, 16, v9
	v_add_f16_e32 v3, v5, v4
	v_sub_f16_e32 v4, v4, v5
	s_delay_alu instid0(VALU_DEP_3) | instskip(SKIP_1) | instid1(VALU_DEP_3)
	v_fma_f16 v5, v0, v6, v7
	v_fma_f16 v7, -v0, v6, v7
	v_fma_f16 v8, v3, v6, v4
	v_fma_f16 v4, v3, v6, -v4
	s_delay_alu instid0(VALU_DEP_4) | instskip(NEXT) | instid1(VALU_DEP_4)
	v_fma_f16 v5, -v9, v3, v5
	v_fmac_f16_e32 v7, v9, v3
	s_delay_alu instid0(VALU_DEP_4) | instskip(NEXT) | instid1(VALU_DEP_4)
	v_fmac_f16_e32 v8, v0, v9
	v_fmac_f16_e32 v4, v0, v9
	s_delay_alu instid0(VALU_DEP_2) | instskip(NEXT) | instid1(VALU_DEP_2)
	v_pack_b32_f16 v0, v5, v8
	v_pack_b32_f16 v3, v7, v4
	ds_store_b32 v60, v0 offset:4320
	ds_store_b32 v2, v3 offset:6480
	ds_load_b32 v3, v60 offset:4680
	ds_load_b32 v4, v2 offset:6120
	v_mad_u32_u24 v0, v24, 12, 0
	s_delay_alu instid0(VALU_DEP_1)
	v_add_nc_u32_e32 v51, 0x1954, v0
	v_add_nc_u32_e32 v52, 0x1d8c, v0
	;; [unrolled: 1-line block ×4, first 2 shown]
	s_wait_dscnt 0x1
	v_lshrrev_b32_e32 v5, 16, v3
	s_wait_dscnt 0x0
	v_lshrrev_b32_e32 v6, 16, v4
	v_add_f16_e32 v8, v3, v4
	v_sub_f16_e32 v3, v3, v4
	s_wait_loadcnt 0x1
	v_lshrrev_b32_e32 v7, 16, v10
	v_add_f16_e32 v4, v6, v5
	v_sub_f16_e32 v5, v5, v6
	s_delay_alu instid0(VALU_DEP_3) | instskip(SKIP_1) | instid1(VALU_DEP_3)
	v_fma_f16 v6, v3, v7, v8
	v_fma_f16 v8, -v3, v7, v8
	v_fma_f16 v9, v4, v7, v5
	v_fma_f16 v5, v4, v7, -v5
	v_add_nc_u32_e32 v7, 0x10e0, v0
	v_fma_f16 v6, -v10, v4, v6
	v_fmac_f16_e32 v8, v10, v4
	v_fmac_f16_e32 v9, v3, v10
	;; [unrolled: 1-line block ×3, first 2 shown]
	v_mul_lo_u16 v10, 0xab, v33
	s_wait_loadcnt 0x0
	v_lshrrev_b32_e32 v14, 16, v1
	v_add_nc_u32_e32 v3, 0x438, v0
	v_pack_b32_f16 v4, v6, v9
	v_pack_b32_f16 v5, v8, v5
	ds_store_b32 v60, v4 offset:4680
	ds_store_b32 v2, v5 offset:6120
	ds_load_b32 v8, v60 offset:5040
	ds_load_b32 v9, v2 offset:5760
	v_lshrrev_b16 v30, 9, v10
	v_mul_lo_u16 v10, 0xab, v36
	v_add_nc_u32_e32 v5, 0x870, v0
	v_add_nc_u32_e32 v6, 0xca8, v0
	;; [unrolled: 1-line block ×3, first 2 shown]
	v_mul_lo_u16 v12, v30, 3
	v_lshrrev_b16 v34, 9, v10
	v_mul_lo_u16 v33, 0x89, v33
	v_and_b32_e32 v30, 0xffff, v30
	s_delay_alu instid0(VALU_DEP_4) | instskip(NEXT) | instid1(VALU_DEP_4)
	v_sub_nc_u16 v10, v24, v12
	v_mul_lo_u16 v13, v34, 3
	s_delay_alu instid0(VALU_DEP_3) | instskip(NEXT) | instid1(VALU_DEP_3)
	v_mul_u32_u24_e32 v30, 0x78, v30
	v_and_b32_e32 v35, 0xff, v10
	s_delay_alu instid0(VALU_DEP_3)
	v_sub_nc_u16 v13, v75, v13
	s_wait_dscnt 0x1
	v_lshrrev_b32_e32 v11, 16, v8
	s_wait_dscnt 0x0
	v_lshrrev_b32_e32 v12, 16, v9
	v_add_f16_e32 v15, v8, v9
	v_sub_f16_e32 v8, v8, v9
	v_and_b32_e32 v37, 0xff, v13
	s_delay_alu instid0(VALU_DEP_4) | instskip(SKIP_1) | instid1(VALU_DEP_4)
	v_add_f16_e32 v9, v12, v11
	v_sub_f16_e32 v11, v11, v12
	v_fma_f16 v10, v8, v14, v15
	v_fma_f16 v15, -v8, v14, v15
	v_mul_lo_u16 v12, v32, 3
	v_mul_u32_u24_e32 v32, 0x78, v32
	v_fma_f16 v16, v9, v14, v11
	v_fma_f16 v11, v9, v14, -v11
	v_fma_f16 v10, -v1, v9, v10
	v_fmac_f16_e32 v15, v1, v9
	s_delay_alu instid0(VALU_DEP_4) | instskip(NEXT) | instid1(VALU_DEP_4)
	v_fmac_f16_e32 v16, v8, v1
	v_fmac_f16_e32 v11, v8, v1
	v_sub_nc_u16 v1, v74, v12
	v_mul_u32_u24_e32 v8, 9, v35
	v_mul_u32_u24_e32 v12, 9, v37
	v_pack_b32_f16 v9, v10, v16
	v_pack_b32_f16 v10, v15, v11
	v_and_b32_e32 v38, 0xffff, v1
	v_lshlrev_b32_e32 v55, 2, v8
	ds_store_b32 v60, v9 offset:5040
	ds_store_b32 v2, v10 offset:5760
	global_wb scope:SCOPE_SE
	s_wait_dscnt 0x0
	s_barrier_signal -1
	s_barrier_wait -1
	global_inv scope:SCOPE_SE
	global_wb scope:SCOPE_SE
	s_barrier_signal -1
	s_barrier_wait -1
	global_inv scope:SCOPE_SE
	ds_load_2addr_b32 v[1:2], v60 offset1:90
	ds_load_2addr_b32 v[8:9], v25 offset0:132 offset1:222
	ds_load_2addr_b32 v[10:11], v61 offset0:8 offset1:98
	v_lshlrev_b32_e32 v57, 2, v12
	ds_load_2addr_b32 v[12:13], v62 offset0:52 offset1:142
	ds_load_2addr_b32 v[14:15], v63 offset0:56 offset1:146
	;; [unrolled: 1-line block ×12, first 2 shown]
	global_wb scope:SCOPE_SE
	s_wait_dscnt 0x0
	s_barrier_signal -1
	s_barrier_wait -1
	global_inv scope:SCOPE_SE
	v_mul_u32_u24_e32 v56, 9, v38
	v_lshlrev_b32_e32 v35, 2, v35
	v_pk_add_f16 v78, v12, v14
	v_pk_add_f16 v79, v14, v16
	v_pk_add_f16 v14, v14, v16 neg_lo:[0,1] neg_hi:[0,1]
	v_pk_add_f16 v80, v13, v15
	v_pk_add_f16 v81, v15, v17
	v_pk_add_f16 v15, v15, v17 neg_lo:[0,1] neg_hi:[0,1]
	v_pk_add_f16 v82, v18, v20
	v_pk_add_f16 v58, v1, v8
	;; [unrolled: 1-line block ×3, first 2 shown]
	v_pk_add_f16 v8, v8, v10 neg_lo:[0,1] neg_hi:[0,1]
	v_pk_add_f16 v76, v2, v9
	v_pk_add_f16 v77, v9, v11
	v_pk_add_f16 v9, v9, v11 neg_lo:[0,1] neg_hi:[0,1]
	v_pk_add_f16 v83, v20, v22
	v_pk_add_f16 v20, v20, v22 neg_lo:[0,1] neg_hi:[0,1]
	v_pk_add_f16 v84, v19, v21
	v_pk_add_f16 v85, v21, v23
	v_pk_add_f16 v21, v21, v23 neg_lo:[0,1] neg_hi:[0,1]
	v_pk_add_f16 v86, v39, v41
	;; [unrolled: 3-line block ×5, first 2 shown]
	v_pk_add_f16 v93, v48, v50
	v_pk_add_f16 v48, v48, v50 neg_lo:[0,1] neg_hi:[0,1]
	v_pk_fma_f16 v1, v59, 0.5, v1 op_sel_hi:[1,0,1] neg_lo:[1,0,0] neg_hi:[1,0,0]
	v_pk_mul_f16 v8, 0x3aee, v8 op_sel_hi:[0,1]
	v_pk_fma_f16 v2, v77, 0.5, v2 op_sel_hi:[1,0,1] neg_lo:[1,0,0] neg_hi:[1,0,0]
	v_pk_mul_f16 v9, 0x3aee, v9 op_sel_hi:[0,1]
	;; [unrolled: 2-line block ×7, first 2 shown]
	v_pk_add_f16 v10, v58, v10
	v_pk_fma_f16 v40, v89, 0.5, v40 op_sel_hi:[1,0,1] neg_lo:[1,0,0] neg_hi:[1,0,0]
	v_pk_mul_f16 v42, 0x3aee, v42 op_sel_hi:[0,1]
	v_pk_fma_f16 v45, v91, 0.5, v45 op_sel_hi:[1,0,1] neg_lo:[1,0,0] neg_hi:[1,0,0]
	v_pk_mul_f16 v47, 0x3aee, v47 op_sel_hi:[0,1]
	;; [unrolled: 2-line block ×3, first 2 shown]
	v_pk_add_f16 v58, v1, v8 op_sel:[0,1] op_sel_hi:[1,0] neg_lo:[0,1] neg_hi:[0,1]
	v_pk_add_f16 v1, v1, v8 op_sel:[0,1] op_sel_hi:[1,0]
	v_pk_add_f16 v8, v2, v9 op_sel:[0,1] op_sel_hi:[1,0] neg_lo:[0,1] neg_hi:[0,1]
	v_pk_add_f16 v2, v2, v9 op_sel:[0,1] op_sel_hi:[1,0]
	;; [unrolled: 2-line block ×7, first 2 shown]
	v_pk_add_f16 v11, v76, v11
	v_pk_add_f16 v41, v40, v42 op_sel:[0,1] op_sel_hi:[1,0] neg_lo:[0,1] neg_hi:[0,1]
	v_pk_add_f16 v40, v40, v42 op_sel:[0,1] op_sel_hi:[1,0]
	v_pk_add_f16 v42, v45, v47 op_sel:[0,1] op_sel_hi:[1,0] neg_lo:[0,1] neg_hi:[0,1]
	v_pk_add_f16 v45, v45, v47 op_sel:[0,1] op_sel_hi:[1,0]
	;; [unrolled: 2-line block ×3, first 2 shown]
	v_bfi_b32 v48, 0xffff, v58, v1
	v_bfi_b32 v1, 0xffff, v1, v58
	;; [unrolled: 1-line block ×3, first 2 shown]
	v_pk_add_f16 v16, v78, v16
	v_bfi_b32 v2, 0xffff, v2, v8
	v_bfi_b32 v8, 0xffff, v9, v12
	v_pk_add_f16 v17, v80, v17
	v_bfi_b32 v9, 0xffff, v12, v9
	v_bfi_b32 v12, 0xffff, v14, v13
	;; [unrolled: 3-line block ×4, first 2 shown]
	v_bfi_b32 v19, 0xffff, v19, v20
	v_bfi_b32 v20, 0xffff, v21, v39
	v_bfi_b32 v21, 0xffff, v39, v21
	v_pk_add_f16 v43, v86, v43
	v_pk_add_f16 v44, v88, v44
	v_pk_add_f16 v49, v90, v49
	v_pk_add_f16 v50, v92, v50
	v_bfi_b32 v39, 0xffff, v41, v40
	v_bfi_b32 v40, 0xffff, v40, v41
	;; [unrolled: 1-line block ×6, first 2 shown]
	ds_store_2addr_b32 v3, v11, v58 offset1:1
	ds_store_2addr_b32 v5, v16, v8 offset1:1
	;; [unrolled: 1-line block ×5, first 2 shown]
	ds_store_b32 v0, v1 offset:8
	ds_store_b32 v0, v2 offset:1088
	;; [unrolled: 1-line block ×6, first 2 shown]
	ds_store_2addr_b32 v4, v18, v19 offset1:1
	ds_store_b32 v0, v43 offset:6480
	ds_store_2addr_b32 v51, v20, v21 offset1:1
	ds_store_b32 v0, v44 offset:7560
	;; [unrolled: 2-line block ×4, first 2 shown]
	ds_store_2addr_b32 v54, v45, v46 offset1:1
	global_wb scope:SCOPE_SE
	s_wait_dscnt 0x0
	s_barrier_signal -1
	s_barrier_wait -1
	global_inv scope:SCOPE_SE
	global_load_b128 v[20:23], v55, s[8:9]
	v_lshlrev_b32_e32 v41, 2, v56
	s_clause 0x7
	global_load_b128 v[16:19], v57, s[8:9]
	global_load_b128 v[12:15], v41, s[8:9]
	global_load_b128 v[4:7], v55, s[8:9] offset:16
	global_load_b128 v[0:3], v57, s[8:9] offset:16
	;; [unrolled: 1-line block ×3, first 2 shown]
	global_load_b32 v40, v55, s[8:9] offset:32
	global_load_b32 v39, v57, s[8:9] offset:32
	global_load_b32 v41, v41, s[8:9] offset:32
	v_lshrrev_b16 v76, 12, v33
	v_mul_lo_u16 v33, 0x89, v36
	v_lshrrev_b32_e32 v77, 20, v31
	v_and_b32_e32 v31, 0xffff, v34
	ds_load_2addr_b32 v[46:47], v70 offset0:28 offset1:118
	ds_load_2addr_b32 v[48:49], v71 offset0:80 offset1:170
	;; [unrolled: 1-line block ×3, first 2 shown]
	v_mul_lo_u16 v36, v76, 30
	v_lshrrev_b16 v79, 12, v33
	v_and_b32_e32 v76, 0xffff, v76
	v_mul_u32_u24_e32 v31, 0x78, v31
	s_delay_alu instid0(VALU_DEP_4) | instskip(NEXT) | instid1(VALU_DEP_4)
	v_sub_nc_u16 v33, v24, v36
	v_mul_lo_u16 v34, v79, 30
	v_mul_lo_u16 v36, v77, 30
	s_delay_alu instid0(VALU_DEP_3) | instskip(NEXT) | instid1(VALU_DEP_3)
	v_and_b32_e32 v81, 0xff, v33
	v_sub_nc_u16 v33, v75, v34
	s_delay_alu instid0(VALU_DEP_3) | instskip(NEXT) | instid1(VALU_DEP_3)
	v_sub_nc_u16 v34, v74, v36
	v_mul_u32_u24_e32 v36, 9, v81
	s_delay_alu instid0(VALU_DEP_3)
	v_and_b32_e32 v80, 0xff, v33
	v_lshlrev_b32_e32 v33, 2, v37
	v_lshlrev_b32_e32 v37, 2, v38
	v_add3_u32 v38, 0, v30, v35
	s_wait_dscnt 0x2
	v_lshrrev_b32_e32 v94, 16, v46
	s_wait_dscnt 0x0
	v_lshrrev_b32_e32 v96, 16, v50
	v_add3_u32 v42, 0, v31, v33
	ds_load_2addr_b32 v[30:31], v62 offset0:52 offset1:142
	ds_load_2addr_b32 v[52:53], v65 offset0:104 offset1:194
	;; [unrolled: 1-line block ×3, first 2 shown]
	v_add3_u32 v37, 0, v32, v37
	ds_load_2addr_b32 v[56:57], v66 offset0:108 offset1:198
	ds_load_2addr_b32 v[58:59], v72 offset0:84 offset1:174
	;; [unrolled: 1-line block ×7, first 2 shown]
	ds_load_2addr_b32 v[32:33], v60 offset1:90
	ds_load_2addr_b32 v[92:93], v73 offset0:88 offset1:178
	v_lshrrev_b32_e32 v97, 16, v47
	v_lshrrev_b32_e32 v95, 16, v49
	;; [unrolled: 1-line block ×4, first 2 shown]
	v_and_b32_e32 v78, 0xffff, v34
	v_lshlrev_b32_e32 v34, 2, v36
	global_wb scope:SCOPE_SE
	s_wait_loadcnt_dscnt 0x0
	s_barrier_signal -1
	s_barrier_wait -1
	global_inv scope:SCOPE_SE
	v_mul_u32_u24_e32 v35, 9, v80
	v_lshrrev_b32_e32 v108, 16, v56
	v_lshrrev_b32_e32 v105, 16, v57
	;; [unrolled: 1-line block ×24, first 2 shown]
	v_mul_u32_u24_e32 v36, 9, v78
	v_lshlrev_b32_e32 v35, 2, v35
	v_lshrrev_b32_e32 v125, 16, v17
	v_lshrrev_b32_e32 v127, 16, v16
	;; [unrolled: 1-line block ×7, first 2 shown]
	v_mul_f16_e64 v139, v121, v31
	v_mul_f16_e64 v142, v46, v122
	v_mul_f16_e32 v121, v121, v99
	v_mul_f16_e32 v122, v94, v122
	v_lshrrev_b32_e32 v128, 16, v18
	v_fma_f16 v99, v20, v99, -v139
	v_fma_f16 v94, v94, v21, -v142
	v_mul_f16_e64 v142, v50, v124
	v_mul_f16_e32 v124, v96, v124
	v_fmac_f16_e32 v121, v20, v31
	v_mul_f16_e32 v20, v97, v125
	v_mul_f16_e64 v139, v49, v123
	v_mul_f16_e32 v123, v95, v123
	v_fma_f16 v96, v96, v23, -v142
	v_fmac_f16_e32 v124, v50, v23
	v_mul_f16_e32 v23, v47, v125
	v_fmac_f16_e32 v20, v47, v17
	v_mul_f16_e32 v47, v52, v127
	v_lshrrev_b32_e32 v129, 16, v12
	v_lshrrev_b32_e32 v130, 16, v13
	;; [unrolled: 1-line block ×4, first 2 shown]
	v_fmac_f16_e32 v123, v49, v22
	v_mul_f16_e32 v31, v98, v126
	v_mul_f16_e32 v49, v51, v126
	;; [unrolled: 1-line block ×3, first 2 shown]
	v_fma_f16 v47, v100, v16, -v47
	v_mul_f16_e64 v100, v54, v128
	v_mul_f16_e64 v126, v101, v128
	v_lshrrev_b32_e32 v133, 16, v4
	v_lshrrev_b32_e32 v134, 16, v5
	;; [unrolled: 1-line block ×9, first 2 shown]
	v_fmac_f16_e32 v122, v46, v21
	v_lshrrev_b32_e32 v21, 16, v10
	v_lshrrev_b32_e32 v46, 16, v40
	v_fmac_f16_e32 v31, v51, v19
	v_lshrrev_b32_e32 v50, 16, v39
	v_fma_f16 v17, v97, v17, -v23
	v_mul_f16_e64 v23, v102, v129
	v_mul_f16_e64 v97, v53, v129
	v_fma_f16 v100, v101, v18, -v100
	v_mul_f16_e64 v101, v103, v130
	v_mul_f16_e64 v127, v48, v130
	;; [unrolled: 3-line block ×3, first 2 shown]
	v_fmac_f16_e32 v125, v52, v16
	v_fmac_f16_e32 v126, v54, v18
	v_mul_f16_e64 v16, v56, v132
	v_mul_f16_e64 v18, v108, v132
	v_fma_f16 v95, v95, v22, -v139
	v_lshrrev_b32_e32 v139, 16, v8
	v_lshrrev_b32_e32 v22, 16, v11
	;; [unrolled: 1-line block ×3, first 2 shown]
	v_mul_f16_e64 v52, v105, v133
	v_mul_f16_e64 v54, v57, v133
	;; [unrolled: 1-line block ×5, first 2 shown]
	v_fmac_f16_e32 v23, v53, v12
	v_mul_f16_e64 v53, v84, v136
	v_mul_f16_e64 v131, v107, v135
	;; [unrolled: 1-line block ×5, first 2 shown]
	v_fmac_f16_e32 v101, v48, v13
	v_mul_f16_e64 v48, v111, v138
	v_mul_f16_e64 v135, v88, v140
	;; [unrolled: 1-line block ×4, first 2 shown]
	v_fmac_f16_e32 v49, v55, v14
	v_mul_f16_e64 v55, v90, v141
	v_mul_f16_e64 v138, v113, v141
	v_fma_f16 v12, v102, v12, -v97
	v_mul_f16_e64 v97, v115, v142
	v_mul_f16_e64 v102, v82, v142
	v_fma_f16 v13, v103, v13, -v127
	v_mul_f16_e32 v103, v116, v21
	v_mul_f16_e32 v21, v91, v21
	v_fma_f16 v14, v104, v14, -v98
	v_fma_f16 v16, v108, v15, -v16
	v_mul_f16_e32 v104, v117, v46
	v_mul_f16_e32 v46, v87, v46
	v_fmac_f16_e32 v18, v56, v15
	v_mul_f16_e32 v15, v119, v50
	v_mul_f16_e32 v50, v92, v50
	v_mul_f16_e64 v140, v114, v139
	v_mul_f16_e64 v139, v89, v139
	v_mul_f16_e32 v98, v86, v22
	v_mul_f16_e32 v22, v118, v22
	;; [unrolled: 1-line block ×4, first 2 shown]
	v_fmac_f16_e32 v52, v57, v4
	v_fma_f16 v4, v105, v4, -v54
	v_fma_f16 v54, v106, v5, -v128
	;; [unrolled: 1-line block ×4, first 2 shown]
	v_fmac_f16_e64 v130, v58, v5
	v_fmac_f16_e64 v131, v83, v6
	;; [unrolled: 1-line block ×4, first 2 shown]
	v_fmac_f16_e32 v48, v85, v3
	v_fma_f16 v5, v112, v0, -v135
	v_fma_f16 v1, v110, v1, -v134
	;; [unrolled: 1-line block ×4, first 2 shown]
	v_fmac_f16_e64 v137, v88, v0
	v_fmac_f16_e64 v138, v90, v2
	v_fmac_f16_e32 v97, v82, v9
	v_fmac_f16_e32 v103, v91, v10
	v_fma_f16 v2, v115, v9, -v102
	v_fma_f16 v7, v116, v10, -v21
	v_fmac_f16_e32 v104, v87, v40
	v_fma_f16 v9, v117, v40, -v46
	v_fmac_f16_e32 v15, v92, v39
	v_fma_f16 v10, v119, v39, -v50
	v_fmac_f16_e64 v140, v89, v8
	v_fma_f16 v0, v114, v8, -v139
	v_fma_f16 v8, v118, v11, -v98
	v_fmac_f16_e32 v22, v86, v11
	v_fmac_f16_e32 v56, v93, v41
	v_fma_f16 v11, v120, v41, -v51
	v_sub_f16_e32 v21, v122, v124
	v_sub_f16_e64 v39, v132, v130
	v_sub_f16_e32 v40, v124, v122
	v_sub_f16_e64 v41, v130, v132
	v_add_f16_e32 v46, v96, v54
	v_add_f16_e32 v55, v94, v53
	v_sub_f16_e32 v58, v96, v94
	v_sub_f16_e32 v59, v54, v53
	;; [unrolled: 1-line block ×3, first 2 shown]
	v_sub_f16_e64 v89, v131, v104
	v_sub_f16_e32 v90, v95, v4
	v_sub_f16_e32 v91, v9, v57
	;; [unrolled: 1-line block ×5, first 2 shown]
	v_sub_f16_e64 v107, v48, v133
	v_add_f16_e64 v108, v31, v133
	v_add_f16_e32 v109, v20, v48
	v_sub_f16_e32 v111, v31, v20
	v_sub_f16_e64 v112, v133, v48
	v_sub_f16_e32 v113, v17, v19
	v_sub_f16_e32 v114, v3, v1
	v_add_f16_e32 v115, v19, v1
	v_add_f16_e32 v116, v17, v3
	v_sub_f16_e64 v120, v126, v137
	v_sub_f16_e64 v127, v15, v138
	v_add_f16_e64 v128, v137, v138
	v_add_f16_e64 v129, v126, v15
	v_sub_f16_e64 v135, v137, v126
	v_sub_f16_e64 v136, v138, v15
	;; [unrolled: 1-line block ×4, first 2 shown]
	v_sub_f16_e32 v50, v94, v96
	v_sub_f16_e32 v51, v53, v54
	v_add_f16_e32 v82, v45, v94
	v_sub_f16_e32 v83, v123, v52
	v_sub_f16_e64 v84, v104, v131
	v_add_f16_e64 v85, v52, v131
	v_add_f16_e32 v86, v123, v104
	v_add_f16_e32 v92, v4, v57
	;; [unrolled: 1-line block ×4, first 2 shown]
	v_sub_f16_e32 v117, v19, v17
	v_sub_f16_e32 v118, v1, v3
	v_add_f16_e32 v119, v44, v17
	v_add_f16_e64 v134, v125, v126
	v_add_f16_e32 v21, v21, v39
	v_add_f16_e32 v39, v5, v6
	;; [unrolled: 1-line block ×4, first 2 shown]
	v_fma_f16 v46, -0.5, v46, v45
	v_fmac_f16_e32 v45, -0.5, v55
	v_sub_f16_e32 v55, v5, v100
	v_add_f16_e32 v58, v58, v59
	v_sub_f16_e32 v59, v6, v10
	v_add_f16_e32 v88, v88, v89
	v_add_f16_e32 v89, v18, v97
	;; [unrolled: 1-line block ×5, first 2 shown]
	v_sub_f16_e32 v105, v18, v101
	v_add_f16_e32 v106, v106, v107
	v_sub_f16_e32 v107, v97, v22
	v_fma_f16 v108, -0.5, v108, v33
	v_fmac_f16_e32 v33, -0.5, v109
	v_sub_f16_e32 v109, v13, v16
	v_add_f16_e32 v111, v111, v112
	v_sub_f16_e32 v112, v8, v2
	v_add_f16_e32 v113, v113, v114
	v_add_f16_e32 v114, v16, v2
	v_fma_f16 v115, -0.5, v115, v44
	v_fmac_f16_e32 v44, -0.5, v116
	v_add_f16_e32 v116, v13, v8
	v_add_f16_e32 v120, v120, v127
	v_sub_f16_e32 v127, v16, v13
	v_fma_f16 v128, -0.5, v128, v125
	v_fmac_f16_e64 v125, -0.5, v129
	v_sub_f16_e64 v129, v2, v8
	v_add_f16_e64 v135, v135, v136
	v_sub_f16_e64 v136, v49, v140
	v_add_f16_e64 v139, v139, v141
	v_sub_f16_e64 v141, v56, v103
	v_add_f16_e32 v87, v121, v123
	v_add_f16_e32 v98, v99, v95
	v_add_f16_e32 v50, v50, v51
	v_add_f16_e32 v51, v47, v100
	v_add_f16_e32 v83, v83, v84
	v_sub_f16_e32 v84, v101, v18
	v_fma_f16 v85, -0.5, v85, v121
	v_fmac_f16_e32 v121, -0.5, v86
	v_sub_f16_e32 v86, v22, v97
	v_fma_f16 v92, -0.5, v92, v99
	v_fmac_f16_e32 v99, -0.5, v93
	v_add_f16_e32 v93, v30, v101
	v_add_f16_e32 v117, v117, v118
	;; [unrolled: 1-line block ×3, first 2 shown]
	v_fma_f16 v39, -0.5, v39, v47
	v_fmac_f16_e32 v47, -0.5, v41
	v_add_f16_e64 v41, v140, v103
	v_add_f16_e32 v55, v55, v59
	v_add_f16_e32 v59, v49, v56
	v_fma_f16 v89, -0.5, v89, v30
	v_fmac_f16_e32 v30, -0.5, v91
	v_sub_f16_e64 v91, v140, v49
	v_add_f16_e32 v105, v105, v107
	v_sub_f16_e32 v107, v103, v56
	v_add_f16_e32 v109, v109, v112
	v_sub_f16_e32 v112, v14, v0
	v_fma_f16 v114, -0.5, v114, v43
	v_fmac_f16_e32 v43, -0.5, v116
	v_sub_f16_e32 v116, v11, v7
	v_add_f16_e64 v127, v127, v129
	v_add_f16_e64 v129, v0, v7
	;; [unrolled: 1-line block ×4, first 2 shown]
	v_add_f16_e32 v84, v84, v86
	v_add_f16_e32 v86, v23, v49
	v_fma_f16 v41, -0.5, v41, v23
	v_fmac_f16_e32 v23, -0.5, v59
	v_add_f16_e32 v59, v12, v14
	v_add_f16_e32 v91, v91, v107
	v_sub_f16_e32 v107, v0, v14
	v_add_f16_e32 v112, v112, v116
	v_sub_f16_e32 v116, v7, v11
	v_fma_f16 v129, -0.5, v129, v12
	v_fmac_f16_e64 v12, -0.5, v141
	v_add_f16_e64 v141, v32, v122
	v_add_f16_e32 v82, v82, v96
	v_add_f16_e32 v107, v107, v116
	v_add_f16_e64 v116, v124, v130
	v_add_f16_e32 v87, v87, v52
	v_add_f16_e64 v141, v141, v124
	v_sub_f16_e64 v124, v124, v130
	v_sub_f16_e64 v52, v52, v131
	v_add_f16_e32 v98, v98, v4
	v_add_f16_e32 v110, v110, v31
	;; [unrolled: 1-line block ×5, first 2 shown]
	v_add_f16_e64 v130, v141, v130
	v_add_f16_e64 v141, v122, v132
	v_sub_f16_e64 v122, v122, v132
	v_sub_f16_e32 v94, v94, v53
	v_fma_f16 v116, -0.5, v116, v32
	v_add_f16_e32 v119, v119, v19
	v_sub_f16_e32 v123, v123, v104
	v_sub_f16_e32 v96, v96, v54
	;; [unrolled: 1-line block ×3, first 2 shown]
	v_add_f16_e64 v134, v134, v137
	v_sub_f16_e64 v137, v137, v138
	v_sub_f16_e32 v5, v5, v6
	v_sub_f16_e32 v18, v18, v97
	v_add_f16_e32 v118, v118, v16
	v_add_f16_e64 v86, v86, v140
	v_sub_f16_e64 v140, v140, v103
	v_sub_f16_e32 v0, v0, v7
	v_sub_f16_e32 v126, v126, v15
	;; [unrolled: 1-line block ×5, first 2 shown]
	v_fma_f16 v32, -0.5, v141, v32
	v_add_f16_e32 v54, v82, v54
	v_add_f16_e64 v82, v87, v131
	v_add_f16_e32 v57, v98, v57
	v_add_f16_e64 v87, v110, v133
	v_add_f16_e32 v6, v51, v6
	v_add_f16_e32 v51, v93, v97
	;; [unrolled: 1-line block ×3, first 2 shown]
	v_fmamk_f16 v59, v94, 0xbb9c, v116
	v_fmac_f16_e32 v116, 0x3b9c, v94
	v_fmamk_f16 v97, v122, 0x3b9c, v46
	v_fmac_f16_e32 v46, 0xbb9c, v122
	v_fma_f16 v131, 0xbb9c, v52, v99
	v_fmac_f16_e32 v99, 0x3b9c, v52
	v_sub_f16_e32 v19, v19, v1
	v_sub_f16_e32 v95, v95, v9
	v_add_f16_e32 v1, v119, v1
	v_fmamk_f16 v119, v123, 0x3b9c, v92
	v_fmac_f16_e32 v92, 0xbb9c, v123
	v_sub_f16_e32 v16, v16, v2
	v_sub_f16_e32 v20, v20, v48
	v_add_f16_e64 v98, v134, v138
	v_add_f16_e32 v2, v118, v2
	v_add_f16_e32 v86, v86, v103
	v_fmamk_f16 v93, v96, 0x3b9c, v32
	v_fmac_f16_e32 v32, 0xbb9c, v96
	v_fmamk_f16 v103, v124, 0xbb9c, v45
	v_fmac_f16_e32 v45, 0x3b9c, v124
	v_fmac_f16_e32 v59, 0xb8b4, v96
	;; [unrolled: 1-line block ×3, first 2 shown]
	v_fma_f16 v96, 0xbb9c, v100, v128
	v_fmac_f16_e64 v128, 0x3b9c, v100
	v_add_f16_e32 v53, v54, v53
	v_fmamk_f16 v54, v126, 0x3b9c, v39
	v_fmac_f16_e32 v39, 0xbb9c, v126
	v_fmac_f16_e32 v97, 0x38b4, v124
	;; [unrolled: 1-line block ×3, first 2 shown]
	v_fma_f16 v124, 0xbb9c, v137, v47
	v_fmac_f16_e64 v47, 0x3b9c, v137
	v_add_f16_e32 v9, v57, v9
	v_fmamk_f16 v57, v14, 0xbb9c, v41
	v_fmac_f16_e32 v41, 0x3b9c, v14
	v_fmac_f16_e64 v131, 0x38b4, v123
	v_fmac_f16_e32 v99, 0xb8b4, v123
	v_fma_f16 v123, 0x3b9c, v49, v129
	v_add_f16_e32 v48, v87, v48
	v_fma_f16 v87, 0xbb9c, v140, v12
	v_fmac_f16_e64 v12, 0x3b9c, v140
	v_sub_f16_e32 v13, v13, v8
	v_fmamk_f16 v110, v95, 0xbb9c, v85
	v_fmac_f16_e32 v119, 0x38b4, v52
	v_fmac_f16_e64 v129, 0xbb9c, v49
	v_sub_f16_e32 v101, v101, v22
	v_fmac_f16_e32 v85, 0x3b9c, v95
	v_fmamk_f16 v118, v4, 0x3b9c, v121
	v_fmac_f16_e32 v121, 0xbb9c, v4
	v_add_f16_e64 v130, v130, v132
	v_add_f16_e32 v82, v82, v104
	v_sub_f16_e32 v17, v17, v3
	v_fmac_f16_e32 v92, 0xb8b4, v52
	v_sub_f16_e64 v31, v31, v133
	v_fmac_f16_e32 v93, 0xb8b4, v94
	v_fmac_f16_e32 v32, 0x38b4, v94
	v_fmamk_f16 v94, v5, 0x3b9c, v125
	v_fmac_f16_e32 v125, 0xbb9c, v5
	v_fmamk_f16 v104, v16, 0x3b9c, v30
	;; [unrolled: 2-line block ×3, first 2 shown]
	v_fmac_f16_e32 v23, 0xbb9c, v0
	v_add_f16_e32 v1, v1, v3
	v_add_f16_e32 v3, v98, v15
	v_fmac_f16_e32 v96, 0xb8b4, v5
	v_fmac_f16_e64 v128, 0x38b4, v5
	v_add_f16_e32 v5, v6, v10
	v_fmac_f16_e64 v54, 0x38b4, v137
	v_fmac_f16_e64 v39, 0xb8b4, v137
	v_fmac_f16_e32 v124, 0x38b4, v126
	v_fmac_f16_e32 v47, 0xb8b4, v126
	v_add_f16_e32 v6, v51, v22
	v_add_f16_e32 v2, v2, v8
	;; [unrolled: 1-line block ×3, first 2 shown]
	v_fmac_f16_e32 v57, 0xb8b4, v0
	v_fmac_f16_e32 v41, 0x38b4, v0
	v_add_f16_e32 v0, v7, v11
	v_fmac_f16_e64 v123, 0x38b4, v140
	v_fmac_f16_e32 v87, 0x38b4, v49
	v_fmac_f16_e32 v12, 0xb8b4, v49
	;; [unrolled: 1-line block ×4, first 2 shown]
	v_fmamk_f16 v122, v13, 0xbb9c, v89
	v_fmac_f16_e32 v89, 0x3b9c, v13
	v_fmac_f16_e32 v110, 0xb8b4, v4
	v_fmac_f16_e64 v129, 0xb8b4, v140
	v_fmac_f16_e32 v119, 0x34f2, v90
	v_fma_f16 v134, 0x3b9c, v19, v33
	v_fmac_f16_e32 v33, 0xbb9c, v19
	v_fmac_f16_e32 v85, 0x38b4, v4
	v_fmamk_f16 v4, v101, 0x3b9c, v114
	v_fmac_f16_e32 v114, 0xbb9c, v101
	v_fmac_f16_e32 v118, 0xb8b4, v95
	;; [unrolled: 1-line block ×3, first 2 shown]
	v_fmac_f16_e64 v131, 0x34f2, v102
	v_fmac_f16_e32 v99, 0x34f2, v102
	v_add_f16_e64 v7, v130, v82
	v_add_f16_e32 v11, v53, v9
	v_fma_f16 v133, 0xbb9c, v17, v108
	v_fmac_f16_e32 v108, 0x3b9c, v17
	v_fmac_f16_e32 v92, 0x34f2, v90
	v_sub_f16_e64 v10, v130, v82
	v_sub_f16_e32 v9, v53, v9
	v_fma_f16 v138, 0x3b9c, v20, v115
	v_fmac_f16_e32 v115, 0xbb9c, v20
	v_fma_f16 v132, 0xbb9c, v31, v44
	v_fmac_f16_e32 v44, 0x3b9c, v31
	v_fmamk_f16 v95, v18, 0xbb9c, v43
	v_fmac_f16_e32 v43, 0x3b9c, v18
	v_fmac_f16_e32 v94, 0xb8b4, v100
	;; [unrolled: 1-line block ×7, first 2 shown]
	v_fmac_f16_e64 v54, 0x34f2, v139
	v_fmac_f16_e64 v39, 0x34f2, v139
	v_fmac_f16_e32 v124, 0x34f2, v55
	v_fmac_f16_e32 v47, 0x34f2, v55
	v_add_f16_e32 v13, v48, v3
	v_sub_f16_e32 v3, v48, v3
	v_add_f16_e32 v14, v1, v5
	v_sub_f16_e32 v1, v1, v5
	v_fmac_f16_e32 v123, 0x34f2, v112
	v_fmac_f16_e32 v87, 0x34f2, v107
	;; [unrolled: 1-line block ×3, first 2 shown]
	v_add_f16_e32 v5, v6, v8
	v_add_f16_e32 v15, v2, v0
	v_sub_f16_e32 v6, v6, v8
	v_sub_f16_e32 v0, v2, v0
	v_fmac_f16_e32 v122, 0xb8b4, v16
	v_fmac_f16_e32 v89, 0x38b4, v16
	;; [unrolled: 1-line block ×3, first 2 shown]
	v_fmac_f16_e64 v129, 0x34f2, v112
	v_mul_f16_e32 v2, 0xb8b4, v119
	v_mul_f16_e32 v16, 0x3a79, v119
	v_fmac_f16_e64 v134, 0xb8b4, v17
	v_fmac_f16_e32 v33, 0x38b4, v17
	v_fmac_f16_e32 v4, 0x38b4, v18
	;; [unrolled: 1-line block ×5, first 2 shown]
	v_mul_f16_e64 v8, 0xbb9c, v131
	v_pack_b32_f16 v7, v7, v11
	v_mul_f16_e32 v11, 0xbb9c, v99
	v_mul_f16_e64 v17, 0x34f2, v131
	v_mul_f16_e32 v18, 0xb4f2, v99
	v_fmac_f16_e64 v133, 0xb8b4, v19
	v_fmac_f16_e32 v108, 0x38b4, v19
	v_fmac_f16_e32 v85, 0x34f2, v83
	v_pack_b32_f16 v9, v10, v9
	v_mul_f16_e32 v10, 0xb8b4, v92
	v_mul_f16_e32 v19, 0xba79, v92
	v_fmac_f16_e64 v138, 0x38b4, v31
	v_fmac_f16_e32 v115, 0xb8b4, v31
	v_fmac_f16_e64 v132, 0x38b4, v20
	v_fmac_f16_e32 v44, 0xb8b4, v20
	v_fmac_f16_e32 v95, 0x38b4, v101
	;; [unrolled: 1-line block ×10, first 2 shown]
	v_fmac_f16_e64 v94, 0x34f2, v135
	v_fmac_f16_e64 v125, 0x34f2, v135
	;; [unrolled: 1-line block ×3, first 2 shown]
	v_fmac_f16_e32 v52, 0x34f2, v91
	v_fmac_f16_e32 v23, 0x34f2, v91
	v_pack_b32_f16 v13, v13, v14
	v_mul_f16_e32 v14, 0xb8b4, v54
	v_pack_b32_f16 v1, v3, v1
	v_mul_f16_e32 v3, 0xbb9c, v124
	;; [unrolled: 2-line block ×4, first 2 shown]
	v_mul_f16_e32 v20, 0x3a79, v54
	v_mul_f16_e32 v21, 0x34f2, v124
	;; [unrolled: 1-line block ×10, first 2 shown]
	v_fmac_f16_e64 v128, 0x34f2, v120
	v_fmac_f16_e64 v41, 0x34f2, v136
	v_mul_f16_e64 v48, 0xb8b4, v129
	v_mul_f16_e64 v51, 0xba79, v129
	v_fmac_f16_e32 v2, 0x3a79, v110
	v_fmac_f16_e32 v16, 0x38b4, v110
	;; [unrolled: 1-line block ×10, first 2 shown]
	v_fmac_f16_e64 v133, 0x34f2, v106
	v_fmac_f16_e64 v134, 0x34f2, v111
	v_fmac_f16_e32 v33, 0x34f2, v111
	v_fmac_f16_e64 v138, 0x34f2, v113
	v_fmac_f16_e64 v132, 0x34f2, v117
	v_fmac_f16_e32 v44, 0x34f2, v117
	v_fmac_f16_e32 v122, 0x34f2, v84
	;; [unrolled: 1-line block ×23, first 2 shown]
	v_fmac_f16_e64 v6, 0xba79, v128
	v_fmac_f16_e64 v31, 0x38b4, v128
	v_fmac_f16_e32 v48, 0xba79, v41
	v_fmac_f16_e32 v51, 0x38b4, v41
	v_add_f16_e32 v23, v59, v2
	v_add_f16_e32 v54, v97, v16
	;; [unrolled: 1-line block ×8, first 2 shown]
	v_sub_f16_e32 v2, v59, v2
	v_sub_f16_e32 v8, v93, v8
	;; [unrolled: 1-line block ×8, first 2 shown]
	v_add_f16_e64 v32, v133, v14
	v_add_f16_e64 v45, v134, v3
	v_add_f16_e32 v46, v33, v15
	v_add_f16_e64 v59, v138, v20
	v_add_f16_e64 v82, v132, v21
	v_add_f16_e32 v83, v44, v22
	v_sub_f16_e64 v14, v133, v14
	v_sub_f16_e64 v3, v134, v3
	v_sub_f16_e32 v15, v33, v15
	v_sub_f16_e64 v20, v138, v20
	v_sub_f16_e64 v21, v132, v21
	v_sub_f16_e32 v22, v44, v22
	v_add_f16_e32 v33, v122, v39
	v_add_f16_e32 v44, v104, v40
	;; [unrolled: 1-line block ×8, first 2 shown]
	v_sub_f16_e32 v6, v108, v6
	v_sub_f16_e32 v31, v115, v31
	v_add_f16_e32 v86, v89, v48
	v_add_f16_e32 v91, v114, v51
	v_sub_f16_e32 v39, v122, v39
	v_sub_f16_e32 v40, v104, v40
	;; [unrolled: 1-line block ×8, first 2 shown]
	v_pack_b32_f16 v23, v23, v54
	v_pack_b32_f16 v41, v41, v55
	;; [unrolled: 1-line block ×24, first 2 shown]
	ds_store_2addr_b32 v38, v7, v23 offset1:3
	ds_store_2addr_b32 v38, v41, v49 offset0:6 offset1:9
	ds_store_2addr_b32 v38, v50, v9 offset0:12 offset1:15
	ds_store_2addr_b32 v38, v2, v8 offset0:18 offset1:21
	ds_store_2addr_b32 v38, v11, v10 offset0:24 offset1:27
	ds_store_2addr_b32 v42, v13, v16 offset1:3
	ds_store_2addr_b32 v42, v17, v18 offset0:6 offset1:9
	ds_store_2addr_b32 v42, v19, v1 offset0:12 offset1:15
	ds_store_2addr_b32 v42, v14, v3 offset0:18 offset1:21
	ds_store_2addr_b32 v42, v15, v6 offset0:24 offset1:27
	;; [unrolled: 5-line block ×3, first 2 shown]
	global_wb scope:SCOPE_SE
	s_wait_dscnt 0x0
	s_barrier_signal -1
	s_barrier_wait -1
	global_inv scope:SCOPE_SE
	global_load_b128 v[20:23], v34, s[8:9] offset:108
	v_lshlrev_b32_e32 v30, 2, v36
	s_clause 0x7
	global_load_b128 v[16:19], v35, s[8:9] offset:108
	global_load_b128 v[8:11], v30, s[8:9] offset:108
	;; [unrolled: 1-line block ×5, first 2 shown]
	global_load_b32 v84, v34, s[8:9] offset:140
	global_load_b32 v83, v35, s[8:9] offset:140
	;; [unrolled: 1-line block ×3, first 2 shown]
	ds_load_2addr_b32 v[54:55], v63 offset0:56 offset1:146
	ds_load_2addr_b32 v[56:57], v70 offset0:28 offset1:118
	;; [unrolled: 1-line block ×9, first 2 shown]
	ds_load_2addr_b32 v[32:33], v60 offset1:90
	ds_load_2addr_b32 v[44:45], v67 offset0:112 offset1:202
	ds_load_2addr_b32 v[34:35], v69 offset0:36 offset1:126
	;; [unrolled: 1-line block ×5, first 2 shown]
	global_wb scope:SCOPE_SE
	s_wait_loadcnt_dscnt 0x0
	s_barrier_signal -1
	s_barrier_wait -1
	global_inv scope:SCOPE_SE
	v_lshrrev_b32_e32 v111, 16, v54
	v_lshrrev_b32_e32 v113, 16, v56
	;; [unrolled: 1-line block ×37, first 2 shown]
	v_mul_f16_e64 v139, v115, v31
	v_mul_f16_e64 v142, v116, v56
	v_mul_f16_e32 v115, v115, v114
	v_lshrrev_b32_e32 v122, 16, v18
	v_lshrrev_b32_e32 v123, 16, v8
	v_fma_f16 v114, v20, v114, -v139
	v_mul_f16_e64 v139, v117, v49
	v_lshrrev_b32_e32 v124, 16, v9
	v_lshrrev_b32_e32 v125, 16, v10
	v_mul_f16_e32 v116, v116, v113
	v_fma_f16 v113, v21, v113, -v142
	v_mul_f16_e64 v142, v54, v118
	v_mul_f16_e32 v117, v117, v112
	v_fma_f16 v139, v22, v112, -v139
	v_mul_f16_e32 v112, v111, v118
	v_lshrrev_b32_e32 v129, 16, v6
	v_lshrrev_b32_e32 v130, 16, v7
	;; [unrolled: 1-line block ×12, first 2 shown]
	v_fma_f16 v111, v111, v23, -v142
	v_mul_f16_e32 v118, v105, v119
	v_mul_f16_e32 v119, v57, v119
	v_fmac_f16_e32 v115, v20, v31
	v_fmac_f16_e32 v116, v21, v56
	;; [unrolled: 1-line block ×4, first 2 shown]
	v_mul_f16_e32 v56, v103, v120
	v_mul_f16_e32 v31, v52, v121
	;; [unrolled: 1-line block ×9, first 2 shown]
	v_lshrrev_b32_e32 v126, 16, v11
	v_lshrrev_b32_e32 v127, 16, v4
	;; [unrolled: 1-line block ×3, first 2 shown]
	v_mul_f16_e32 v123, v53, v123
	v_fmac_f16_e32 v118, v57, v17
	v_mul_f16_e32 v57, v48, v124
	v_mul_f16_e32 v124, v51, v125
	v_fmac_f16_e32 v56, v55, v19
	v_fma_f16 v54, v108, v16, -v31
	v_fma_f16 v105, v105, v17, -v119
	v_mul_f16_e64 v119, v37, v129
	v_fma_f16 v107, v107, v18, -v121
	v_mul_f16_e64 v121, v44, v130
	v_mul_f16_e64 v129, v95, v129
	;; [unrolled: 1-line block ×3, first 2 shown]
	v_fma_f16 v103, v103, v19, -v120
	v_mul_f16_e64 v120, v90, v131
	v_mul_f16_e64 v130, v43, v131
	v_fmac_f16_e32 v49, v52, v16
	v_fmac_f16_e32 v122, v50, v18
	v_mul_f16_e64 v50, v89, v132
	v_mul_f16_e64 v131, v40, v133
	;; [unrolled: 1-line block ×7, first 2 shown]
	v_fmac_f16_e32 v20, v53, v8
	v_mul_f16_e64 v19, v101, v136
	v_mul_f16_e64 v53, v36, v136
	;; [unrolled: 1-line block ×4, first 2 shown]
	v_fmac_f16_e32 v23, v48, v9
	v_mul_f16_e64 v137, v34, v138
	v_mul_f16_e64 v48, v106, v138
	;; [unrolled: 1-line block ×4, first 2 shown]
	v_fmac_f16_e32 v21, v51, v10
	v_mul_f16_e64 v51, v109, v141
	v_mul_f16_e64 v140, v58, v141
	v_lshrrev_b32_e32 v143, 16, v86
	v_mul_f16_e32 v125, v46, v126
	v_mul_f16_e32 v22, v100, v126
	;; [unrolled: 1-line block ×4, first 2 shown]
	v_mul_f16_e64 v108, v42, v128
	v_mul_f16_e64 v128, v94, v128
	;; [unrolled: 1-line block ×3, first 2 shown]
	v_fmac_f16_e64 v129, v37, v6
	v_fmac_f16_e32 v120, v43, v1
	v_fmac_f16_e32 v50, v45, v3
	v_fma_f16 v37, v92, v0, -v131
	v_fma_f16 v43, v91, v2, -v142
	v_fmac_f16_e64 v133, v40, v0
	v_fmac_f16_e64 v134, v38, v2
	v_fmac_f16_e32 v16, v41, v12
	v_fma_f16 v2, v88, v12, -v135
	v_fmac_f16_e32 v51, v58, v83
	v_fma_f16 v12, v109, v83, -v140
	v_mul_f16_e64 v18, v110, v143
	v_mul_f16_e64 v141, v59, v143
	v_fma_f16 v31, v98, v9, -v57
	v_fma_f16 v9, v99, v10, -v124
	;; [unrolled: 1-line block ×3, first 2 shown]
	v_fmac_f16_e32 v22, v46, v11
	v_fmac_f16_e32 v126, v47, v4
	v_fma_f16 v46, v93, v4, -v127
	v_fma_f16 v47, v94, v5, -v108
	;; [unrolled: 1-line block ×4, first 2 shown]
	v_fmac_f16_e64 v128, v42, v5
	v_fmac_f16_e32 v55, v44, v7
	v_fma_f16 v42, v90, v1, -v130
	v_fma_f16 v11, v89, v3, -v132
	v_fmac_f16_e32 v19, v36, v13
	v_fmac_f16_e32 v17, v39, v14
	v_fma_f16 v3, v101, v13, -v53
	v_fma_f16 v0, v102, v14, -v136
	v_fmac_f16_e32 v48, v34, v15
	v_fmac_f16_e32 v52, v35, v84
	v_fma_f16 v14, v104, v84, -v138
	v_sub_f16_e32 v7, v56, v118
	v_sub_f16_e32 v13, v120, v50
	v_add_f16_e64 v34, v133, v134
	v_add_f16_e32 v35, v122, v51
	v_sub_f16_e64 v36, v133, v122
	v_sub_f16_e64 v38, v134, v51
	v_add_f16_e32 v40, v37, v43
	v_sub_f16_e32 v45, v37, v107
	v_sub_f16_e32 v53, v43, v12
	v_fma_f16 v8, v97, v8, -v123
	v_fma_f16 v4, v106, v15, -v137
	v_fmac_f16_e32 v18, v59, v86
	v_fma_f16 v1, v110, v86, -v141
	v_add_f16_e32 v5, v56, v120
	v_add_f16_e32 v6, v118, v50
	;; [unrolled: 1-line block ×4, first 2 shown]
	v_sub_f16_e32 v58, v116, v112
	v_sub_f16_e64 v59, v55, v128
	v_sub_f16_e32 v83, v112, v116
	v_sub_f16_e64 v84, v128, v55
	v_sub_f16_e32 v86, v113, v111
	v_sub_f16_e32 v88, v93, v47
	v_add_f16_e32 v89, v111, v47
	v_add_f16_e32 v90, v113, v93
	v_sub_f16_e32 v92, v111, v113
	v_sub_f16_e32 v94, v47, v93
	;; [unrolled: 1-line block ×3, first 2 shown]
	v_sub_f16_e64 v96, v52, v129
	v_add_f16_e64 v97, v126, v129
	v_add_f16_e32 v98, v117, v52
	v_add_f16_e32 v99, v115, v117
	v_sub_f16_e32 v100, v126, v117
	v_sub_f16_e64 v101, v129, v52
	v_sub_f16_e64 v102, v139, v46
	v_sub_f16_e32 v104, v14, v57
	v_sub_f16_e64 v110, v46, v139
	v_sub_f16_e32 v119, v57, v14
	v_sub_f16_e32 v124, v105, v103
	;; [unrolled: 1-line block ×3, first 2 shown]
	v_add_f16_e32 v127, v103, v42
	v_add_f16_e64 v130, v105, v11
	v_sub_f16_e64 v136, v122, v133
	v_sub_f16_e64 v137, v51, v134
	v_add_f16_e64 v143, v7, v13
	v_add_f16_e64 v144, v22, v19
	v_fma_f16 v7, -0.5, v34, v49
	v_fmac_f16_e32 v49, -0.5, v35
	v_add_f16_e32 v34, v23, v48
	v_add_f16_e32 v35, v36, v38
	v_fma_f16 v13, -0.5, v40, v54
	v_sub_f16_e32 v36, v22, v23
	v_add_f16_e32 v38, v45, v53
	v_sub_f16_e32 v40, v19, v48
	v_add_f16_e32 v45, v32, v116
	v_add_f16_e32 v15, v33, v118
	;; [unrolled: 1-line block ×5, first 2 shown]
	v_add_f16_e64 v108, v139, v14
	v_sub_f16_e32 v121, v118, v56
	v_add_f16_e64 v131, v82, v105
	v_fma_f16 v5, -0.5, v5, v33
	v_fmac_f16_e32 v33, -0.5, v6
	v_add_f16_e32 v6, v30, v23
	v_fmac_f16_e32 v54, -0.5, v41
	v_add_f16_e32 v41, v58, v59
	v_add_f16_e32 v53, v83, v84
	;; [unrolled: 1-line block ×3, first 2 shown]
	v_fma_f16 v84, -0.5, v89, v87
	v_fmac_f16_e32 v87, -0.5, v90
	v_add_f16_e32 v88, v92, v94
	v_add_f16_e32 v90, v95, v96
	v_fma_f16 v94, -0.5, v97, v115
	v_fmac_f16_e32 v115, -0.5, v98
	v_add_f16_e32 v96, v100, v101
	v_add_f16_e32 v98, v102, v104
	v_sub_f16_e64 v100, v133, v134
	v_add_f16_e32 v104, v110, v119
	v_sub_f16_e32 v110, v113, v93
	v_sub_f16_e32 v113, v117, v52
	;; [unrolled: 1-line block ×4, first 2 shown]
	v_add_f16_e32 v122, v124, v125
	v_fma_f16 v124, -0.5, v127, v82
	v_fmac_f16_e64 v82, -0.5, v130
	v_add_f16_e64 v130, v136, v137
	v_fma_f16 v136, -0.5, v144, v30
	v_fmac_f16_e32 v30, -0.5, v34
	v_add_f16_e32 v34, v36, v40
	v_add_f16_e32 v36, v45, v112
	;; [unrolled: 1-line block ×3, first 2 shown]
	v_add_f16_e64 v109, v114, v139
	v_sub_f16_e64 v138, v107, v37
	v_sub_f16_e64 v89, v126, v129
	v_sub_f16_e32 v95, v56, v120
	v_fma_f16 v101, -0.5, v106, v114
	v_fmac_f16_e32 v114, -0.5, v108
	v_sub_f16_e32 v102, v37, v43
	v_add_f16_e32 v15, v15, v56
	v_add_f16_e64 v56, v131, v103
	v_add_f16_e32 v37, v44, v37
	v_add_f16_e64 v45, v45, v129
	v_fma_f16 v129, 0xbb9c, v100, v54
	v_fmac_f16_e32 v54, 0x3b9c, v100
	v_sub_f16_e64 v132, v103, v105
	v_sub_f16_e64 v135, v42, v11
	;; [unrolled: 1-line block ×3, first 2 shown]
	v_add_f16_e64 v58, v112, v128
	v_sub_f16_e64 v83, v112, v128
	v_sub_f16_e32 v92, v46, v57
	v_sub_f16_e32 v97, v103, v42
	;; [unrolled: 1-line block ×3, first 2 shown]
	v_add_f16_e64 v36, v36, v128
	v_add_f16_e32 v42, v56, v42
	v_add_f16_e32 v37, v37, v43
	v_fmamk_f16 v103, v89, 0xbb9c, v114
	v_fmamk_f16 v126, v102, 0x3b9c, v49
	v_fmac_f16_e32 v49, 0xbb9c, v102
	v_fma_f16 v128, 0x3b9c, v118, v13
	v_fmac_f16_e32 v13, 0xbb9c, v118
	v_fmac_f16_e32 v54, 0xb8b4, v118
	v_sub_f16_e32 v123, v50, v120
	v_add_f16_e32 v106, v116, v55
	v_sub_f16_e32 v108, v116, v55
	v_sub_f16_e64 v116, v139, v14
	v_sub_f16_e32 v105, v105, v11
	v_add_f16_e64 v127, v132, v135
	v_add_f16_e64 v132, v138, v140
	v_add_f16_e32 v40, v91, v111
	v_add_f16_e32 v46, v109, v46
	v_fma_f16 v44, -0.5, v58, v32
	v_add_f16_e32 v15, v15, v120
	v_fmamk_f16 v91, v92, 0x3b9c, v115
	v_fmamk_f16 v109, v97, 0x3b9c, v33
	v_fmac_f16_e32 v33, 0xbb9c, v97
	v_fmamk_f16 v120, v107, 0xbb9c, v7
	v_fmac_f16_e32 v7, 0x3b9c, v107
	v_fmac_f16_e32 v103, 0x38b4, v113
	v_add_f16_e32 v11, v42, v11
	v_fmac_f16_e32 v49, 0x38b4, v107
	v_add_f16_e32 v12, v37, v12
	v_fmac_f16_e32 v13, 0xb8b4, v100
	v_fmac_f16_e64 v129, 0x38b4, v118
	v_fmac_f16_e32 v54, 0x34f2, v38
	v_sub_f16_e32 v86, v111, v47
	v_add_f16_e32 v119, v121, v123
	v_sub_f16_e32 v123, v10, v3
	v_fma_f16 v32, -0.5, v106, v32
	v_fmamk_f16 v43, v110, 0xbb9c, v44
	v_fmac_f16_e32 v44, 0x3b9c, v110
	v_add_f16_e32 v36, v36, v55
	v_add_f16_e32 v45, v45, v52
	v_fmac_f16_e32 v91, 0xb8b4, v116
	v_fmac_f16_e32 v33, 0x38b4, v105
	;; [unrolled: 1-line block ×5, first 2 shown]
	v_fmac_f16_e64 v13, 0x34f2, v132
	v_fmac_f16_e64 v129, 0x34f2, v38
	v_add_f16_e32 v38, v11, v12
	v_sub_f16_e32 v11, v11, v12
	v_mul_f16_e32 v12, 0xbb9c, v54
	v_sub_f16_e32 v121, v31, v4
	v_add_f16_e32 v125, v85, v31
	v_add_f16_e64 v39, v39, v133
	v_add_f16_e32 v40, v40, v47
	v_fmamk_f16 v47, v86, 0x3b9c, v32
	v_fmac_f16_e32 v32, 0xbb9c, v86
	v_fma_f16 v133, 0x3b9c, v123, v30
	v_fmac_f16_e32 v30, 0xbb9c, v123
	v_fmac_f16_e32 v43, 0xb8b4, v86
	;; [unrolled: 1-line block ×3, first 2 shown]
	v_fmac_f16_e64 v33, 0x34f2, v143
	v_fmac_f16_e32 v91, 0x34f2, v96
	v_add_f16_e32 v37, v36, v45
	v_sub_f16_e32 v36, v36, v45
	v_fmac_f16_e64 v7, 0x34f2, v130
	v_mul_f16_e32 v42, 0xbb9c, v103
	v_mul_f16_e32 v45, 0x34f2, v103
	;; [unrolled: 1-line block ×4, first 2 shown]
	v_fmac_f16_e32 v12, 0xb4f2, v49
	v_fmac_f16_e32 v42, 0x34f2, v91
	;; [unrolled: 1-line block ×5, first 2 shown]
	v_add_f16_e32 v7, v33, v12
	v_sub_f16_e32 v33, v33, v12
	v_add_f16_e32 v6, v6, v22
	v_fmac_f16_e64 v133, 0xb8b4, v121
	v_fmac_f16_e32 v30, 0x38b4, v121
	v_add_f16_e32 v12, v125, v10
	v_add_f16_e32 v91, v10, v3
	;; [unrolled: 1-line block ×3, first 2 shown]
	v_fmac_f16_e64 v133, 0x34f2, v34
	v_fmac_f16_e32 v30, 0x34f2, v34
	v_add_f16_e32 v12, v12, v3
	v_fma_f16 v34, -0.5, v91, v85
	v_add_f16_e32 v91, v31, v4
	v_sub_f16_e64 v141, v23, v22
	v_sub_f16_e64 v142, v48, v19
	v_sub_f16_e32 v23, v23, v48
	v_add_f16_e32 v6, v6, v48
	v_add_f16_e32 v48, v12, v4
	v_sub_f16_e32 v12, v22, v19
	v_fmac_f16_e32 v85, -0.5, v91
	v_fmamk_f16 v58, v116, 0xbb9c, v94
	v_fmac_f16_e32 v94, 0x3b9c, v116
	v_fmamk_f16 v19, v23, 0x3b9c, v34
	v_sub_f16_e32 v22, v31, v10
	v_sub_f16_e32 v10, v10, v31
	;; [unrolled: 1-line block ×3, first 2 shown]
	v_fmac_f16_e32 v34, 0xbb9c, v23
	v_fmamk_f16 v91, v12, 0xbb9c, v85
	v_sub_f16_e32 v3, v3, v4
	v_fmac_f16_e32 v85, 0x3b9c, v12
	v_fmac_f16_e32 v115, 0xbb9c, v92
	;; [unrolled: 1-line block ×5, first 2 shown]
	v_add_f16_e32 v4, v22, v31
	v_fmac_f16_e32 v34, 0xb8b4, v12
	v_fmac_f16_e32 v91, 0x38b4, v23
	v_add_f16_e32 v3, v10, v3
	v_add_f16_e32 v10, v16, v17
	v_fmac_f16_e32 v85, 0xb8b4, v23
	v_sub_f16_e32 v12, v21, v16
	v_sub_f16_e32 v22, v18, v17
	v_add_f16_e32 v23, v21, v18
	v_add_f16_e32 v92, v20, v21
	v_fmac_f16_e32 v19, 0x34f2, v4
	v_fmac_f16_e32 v34, 0x34f2, v4
	v_fma_f16 v4, -0.5, v10, v20
	v_sub_f16_e32 v10, v9, v1
	v_sub_f16_e32 v31, v2, v0
	v_add_f16_e32 v12, v12, v22
	v_fmac_f16_e32 v20, -0.5, v23
	v_add_f16_e32 v22, v92, v16
	v_fmamk_f16 v99, v113, 0x3b9c, v101
	v_fmac_f16_e32 v101, 0xbb9c, v113
	v_add_f16_e32 v40, v40, v93
	v_fmac_f16_e32 v91, 0x34f2, v3
	v_fmac_f16_e32 v85, 0x34f2, v3
	v_fmamk_f16 v3, v10, 0xbb9c, v4
	v_fmac_f16_e32 v4, 0x3b9c, v10
	v_fmamk_f16 v93, v31, 0x3b9c, v20
	v_fmac_f16_e32 v20, 0xbb9c, v31
	v_add_f16_e32 v22, v22, v17
	v_fmac_f16_e32 v101, 0xb8b4, v89
	v_fmac_f16_e32 v3, 0xb8b4, v31
	;; [unrolled: 1-line block ×5, first 2 shown]
	v_add_f16_e32 v10, v22, v18
	v_add_f16_e32 v22, v2, v0
	;; [unrolled: 1-line block ×3, first 2 shown]
	v_add_f16_e64 v39, v39, v134
	v_fmac_f16_e32 v101, 0x34f2, v98
	v_sub_f16_e32 v23, v16, v21
	v_fmac_f16_e32 v3, 0x34f2, v12
	v_fmac_f16_e32 v4, 0x34f2, v12
	v_add_f16_e32 v12, v8, v9
	v_fma_f16 v22, -0.5, v22, v8
	v_sub_f16_e32 v16, v16, v17
	v_fmac_f16_e32 v8, -0.5, v31
	v_add_f16_e32 v39, v39, v51
	v_fmac_f16_e32 v94, 0x34f2, v90
	v_mul_f16_e32 v51, 0xb8b4, v101
	v_mul_f16_e32 v52, 0xba79, v101
	v_sub_f16_e32 v92, v17, v18
	v_sub_f16_e32 v17, v21, v18
	;; [unrolled: 1-line block ×5, first 2 shown]
	v_fmamk_f16 v31, v16, 0xbb9c, v8
	v_fmac_f16_e32 v8, 0x3b9c, v16
	v_fmac_f16_e32 v114, 0x3b9c, v89
	;; [unrolled: 1-line block ×4, first 2 shown]
	v_add_f16_e32 v23, v23, v92
	v_sub_f16_e32 v92, v1, v0
	v_fmamk_f16 v94, v17, 0x3b9c, v22
	v_add_f16_e32 v9, v9, v21
	v_fmac_f16_e32 v8, 0xb8b4, v17
	v_add_f16_e32 v46, v46, v57
	v_fmac_f16_e32 v99, 0x38b4, v89
	v_fmac_f16_e32 v114, 0xb8b4, v113
	v_add_f16_e32 v18, v18, v92
	v_fmac_f16_e32 v94, 0x38b4, v16
	v_fmac_f16_e32 v22, 0xbb9c, v17
	;; [unrolled: 1-line block ×3, first 2 shown]
	v_fmamk_f16 v56, v108, 0x3b9c, v84
	v_fmac_f16_e32 v115, 0x38b4, v116
	v_add_f16_e32 v14, v46, v14
	v_add_f16_e32 v15, v15, v50
	v_fmac_f16_e32 v126, 0xb8b4, v107
	v_fmac_f16_e32 v99, 0x34f2, v98
	;; [unrolled: 1-line block ×4, first 2 shown]
	v_add_f16_e32 v2, v12, v2
	v_fmac_f16_e32 v94, 0x34f2, v18
	v_fmac_f16_e32 v22, 0xb8b4, v16
	;; [unrolled: 1-line block ×3, first 2 shown]
	v_mul_f16_e32 v16, 0xbb9c, v8
	v_fmac_f16_e32 v47, 0xb8b4, v110
	v_fmac_f16_e32 v32, 0x38b4, v110
	;; [unrolled: 1-line block ×7, first 2 shown]
	v_add_f16_e32 v41, v40, v14
	v_sub_f16_e32 v14, v40, v14
	v_fmac_f16_e32 v126, 0x34f2, v35
	v_add_f16_e32 v35, v15, v39
	v_sub_f16_e32 v15, v15, v39
	v_mul_f16_e32 v39, 0xb8b4, v99
	v_mul_f16_e32 v40, 0x3a79, v99
	;; [unrolled: 1-line block ×3, first 2 shown]
	v_add_f16_e32 v0, v2, v0
	v_mul_f16_e32 v2, 0xb8b4, v94
	v_fmac_f16_e32 v31, 0x34f2, v9
	v_fmac_f16_e32 v16, 0xb4f2, v20
	;; [unrolled: 1-line block ×3, first 2 shown]
	v_mul_f16_e32 v21, 0x3a79, v94
	v_fmac_f16_e64 v128, 0x38b4, v100
	v_fmac_f16_e32 v47, 0x34f2, v53
	v_fmac_f16_e32 v32, 0x34f2, v53
	;; [unrolled: 1-line block ×3, first 2 shown]
	v_mul_f16_e32 v54, 0xb4f2, v54
	v_fmac_f16_e32 v39, 0x3a79, v58
	v_fmac_f16_e32 v40, 0x38b4, v58
	;; [unrolled: 1-line block ×4, first 2 shown]
	v_add_f16_e32 v0, v0, v1
	v_fmac_f16_e32 v2, 0x3a79, v3
	v_add_f16_e32 v9, v30, v16
	v_mul_f16_e32 v17, 0xb8b4, v22
	v_sub_f16_e32 v16, v30, v16
	v_mul_f16_e32 v30, 0x34f2, v31
	v_fmac_f16_e32 v21, 0x38b4, v3
	v_mul_f16_e32 v3, 0xb4f2, v8
	v_mul_f16_e32 v22, 0xba79, v22
	v_fmamk_f16 v57, v83, 0xbb9c, v87
	v_fmac_f16_e32 v87, 0x3b9c, v83
	v_fmac_f16_e32 v84, 0xbb9c, v108
	v_fmamk_f16 v106, v105, 0xbb9c, v5
	v_fmac_f16_e32 v5, 0x3b9c, v105
	v_fmamk_f16 v111, v117, 0x3b9c, v124
	v_fmac_f16_e32 v120, 0xb8b4, v102
	v_fmac_f16_e64 v128, 0x34f2, v132
	v_fmac_f16_e32 v54, 0x3b9c, v49
	v_add_f16_e32 v49, v43, v39
	v_sub_f16_e32 v39, v43, v39
	v_add_f16_e32 v43, v47, v42
	v_sub_f16_e32 v42, v47, v42
	;; [unrolled: 2-line block ×4, first 2 shown]
	v_add_f16_e32 v51, v56, v40
	v_mul_f16_e32 v1, 0xbb9c, v31
	v_fmac_f16_e32 v30, 0x3b9c, v93
	v_fmac_f16_e32 v3, 0x3b9c, v20
	v_add_f16_e32 v20, v48, v0
	v_fmac_f16_e32 v22, 0x38b4, v4
	v_sub_f16_e32 v0, v48, v0
	v_mul_u32_u24_e32 v48, 0x4b0, v76
	v_lshlrev_b32_e32 v76, 2, v81
	v_fmac_f16_e32 v57, 0x38b4, v108
	v_fmac_f16_e32 v87, 0xb8b4, v108
	v_mul_f16_e32 v50, 0xb4f2, v114
	v_fmamk_f16 v112, v95, 0xbb9c, v82
	v_fmac_f16_e32 v82, 0x3b9c, v95
	v_fmac_f16_e32 v84, 0xb8b4, v83
	;; [unrolled: 1-line block ×6, first 2 shown]
	v_fmac_f16_e64 v120, 0x34f2, v130
	v_mul_f16_e64 v53, 0xb8b4, v128
	v_mul_f16_e64 v55, 0x3a79, v128
	v_add_f16_e32 v18, v6, v10
	v_fmac_f16_e32 v1, 0x34f2, v93
	v_fmac_f16_e32 v17, 0xba79, v4
	v_add_f16_e32 v4, v19, v21
	v_sub_f16_e32 v6, v6, v10
	v_add_f16_e32 v10, v91, v30
	v_add_f16_e32 v93, v34, v22
	v_sub_f16_e32 v19, v19, v21
	v_sub_f16_e32 v21, v91, v30
	;; [unrolled: 1-line block ×3, first 2 shown]
	v_add3_u32 v30, 0, v48, v76
	v_pack_b32_f16 v34, v37, v41
	v_pack_b32_f16 v37, v49, v51
	v_fma_f16 v131, 0xbb9c, v121, v136
	v_fmac_f16_e32 v57, 0x34f2, v88
	v_fmac_f16_e32 v87, 0x34f2, v88
	;; [unrolled: 1-line block ×7, first 2 shown]
	v_mul_f16_e64 v59, 0xbb9c, v129
	v_mul_f16_e64 v83, 0x34f2, v129
	v_fmac_f16_e64 v136, 0x3b9c, v121
	v_fmac_f16_e32 v124, 0xb8b4, v95
	v_fmac_f16_e32 v106, 0x34f2, v119
	;; [unrolled: 1-line block ×6, first 2 shown]
	v_sub_f16_e32 v40, v56, v40
	ds_store_2addr_b32 v30, v34, v37 offset1:30
	v_and_b32_e32 v37, 0xffff, v79
	v_add_f16_e64 v135, v141, v142
	v_fmac_f16_e64 v131, 0xb8b4, v123
	v_add_f16_e32 v56, v57, v45
	v_sub_f16_e32 v45, v57, v45
	v_add_f16_e32 v57, v87, v50
	v_fmac_f16_e64 v109, 0x34f2, v143
	v_fmac_f16_e32 v112, 0x34f2, v127
	v_fmac_f16_e32 v82, 0x34f2, v127
	;; [unrolled: 1-line block ×4, first 2 shown]
	v_add_f16_e32 v58, v84, v52
	v_fmac_f16_e64 v136, 0x38b4, v123
	v_fmac_f16_e32 v124, 0x34f2, v122
	v_sub_f16_e32 v50, v87, v50
	v_sub_f16_e32 v52, v84, v52
	v_add_f16_e32 v84, v106, v53
	v_add_f16_e32 v88, v5, v86
	v_sub_f16_e32 v5, v5, v86
	v_add_f16_e32 v86, v111, v55
	v_pack_b32_f16 v14, v36, v14
	v_pack_b32_f16 v36, v39, v40
	v_mul_u32_u24_e32 v37, 0x4b0, v37
	v_lshlrev_b32_e32 v39, 2, v80
	v_fmac_f16_e64 v131, 0x34f2, v135
	v_pack_b32_f16 v34, v43, v56
	v_pack_b32_f16 v41, v47, v57
	v_add_f16_e32 v87, v109, v59
	v_add_f16_e32 v89, v112, v83
	;; [unrolled: 1-line block ×3, first 2 shown]
	v_pack_b32_f16 v43, v46, v58
	v_fmac_f16_e64 v136, 0x34f2, v135
	v_sub_f16_e32 v54, v82, v54
	v_add_f16_e32 v82, v124, v13
	v_pack_b32_f16 v40, v42, v45
	v_sub_f16_e32 v53, v106, v53
	v_sub_f16_e32 v59, v109, v59
	;; [unrolled: 1-line block ×4, first 2 shown]
	v_pack_b32_f16 v32, v32, v50
	v_pack_b32_f16 v42, v44, v52
	v_add_nc_u32_e32 v44, 0x200, v30
	v_sub_f16_e32 v13, v124, v13
	v_add3_u32 v37, 0, v37, v39
	v_pack_b32_f16 v35, v35, v38
	v_pack_b32_f16 v38, v84, v86
	v_add_f16_e64 v23, v131, v2
	ds_store_2addr_b32 v30, v34, v41 offset0:60 offset1:90
	ds_store_2addr_b32 v30, v43, v14 offset0:120 offset1:150
	;; [unrolled: 1-line block ×4, first 2 shown]
	ds_store_2addr_b32 v37, v35, v38 offset1:30
	v_mul_u32_u24_e32 v32, 0x4b0, v77
	v_lshlrev_b32_e32 v34, 2, v78
	v_add_f16_e64 v8, v133, v1
	v_add_f16_e32 v92, v85, v3
	v_sub_f16_e64 v1, v133, v1
	v_pack_b32_f16 v14, v87, v89
	v_pack_b32_f16 v7, v7, v90
	v_add_f16_e64 v31, v136, v17
	v_pack_b32_f16 v30, v88, v82
	v_pack_b32_f16 v11, v15, v11
	v_sub_f16_e64 v2, v131, v2
	v_pack_b32_f16 v15, v53, v55
	v_pack_b32_f16 v35, v59, v83
	;; [unrolled: 1-line block ×4, first 2 shown]
	v_add_nc_u32_e32 v13, 0x200, v37
	v_add3_u32 v32, 0, v32, v34
	v_pack_b32_f16 v18, v18, v20
	v_pack_b32_f16 v4, v23, v4
	v_sub_f16_e32 v3, v85, v3
	ds_store_2addr_b32 v37, v14, v7 offset0:60 offset1:90
	ds_store_2addr_b32 v37, v30, v11 offset0:120 offset1:150
	;; [unrolled: 1-line block ×4, first 2 shown]
	ds_store_2addr_b32 v32, v18, v4 offset1:30
	v_pack_b32_f16 v4, v8, v10
	v_pack_b32_f16 v5, v9, v92
	;; [unrolled: 1-line block ×4, first 2 shown]
	v_dual_mov_b32 v1, 0 :: v_dual_lshlrev_b32 v0, 1, v24
	v_pack_b32_f16 v7, v31, v93
	v_pack_b32_f16 v2, v2, v19
	;; [unrolled: 1-line block ×3, first 2 shown]
	ds_store_2addr_b32 v32, v4, v5 offset0:60 offset1:90
	ds_store_2addr_b32 v32, v7, v6 offset0:120 offset1:150
	;; [unrolled: 1-line block ×3, first 2 shown]
	v_lshlrev_b64_e32 v[2:3], 2, v[0:1]
	v_add_nc_u32_e32 v12, 0x10e, v24
	v_sub_f16_e64 v17, v136, v17
	v_subrev_nc_u32_e32 v8, 30, v24
	v_dual_mov_b32 v7, v1 :: v_dual_lshlrev_b32 v6, 1, v75
	v_add_co_u32 v4, s0, s8, v2
	s_wait_alu 0xf1ff
	v_add_co_ci_u32_e64 v5, s0, s9, v3, s0
	v_cmp_gt_u32_e64 s0, 30, v24
	v_pack_b32_f16 v10, v17, v22
	v_add_nc_u32_e32 v11, 0x200, v32
	v_lshlrev_b64_e32 v[2:3], 2, v[6:7]
	v_lshlrev_b32_e32 v6, 1, v74
	s_wait_alu 0xf1ff
	v_cndmask_b32_e64 v17, v8, v12, s0
	v_add_nc_u32_e32 v16, 0x21c, v24
	ds_store_2addr_b32 v11, v9, v10 offset0:112 offset1:142
	v_mov_b32_e32 v9, v1
	v_lshlrev_b64_e32 v[10:11], 2, v[6:7]
	v_lshlrev_b32_e32 v8, 1, v17
	v_add_co_u32 v6, s0, s8, v2
	s_wait_alu 0xf1ff
	v_add_co_ci_u32_e64 v7, s0, s9, v3, s0
	s_delay_alu instid0(VALU_DEP_3)
	v_lshlrev_b64_e32 v[8:9], 2, v[8:9]
	v_add_co_u32 v2, s0, s8, v10
	s_wait_alu 0xf1ff
	v_add_co_ci_u32_e64 v3, s0, s9, v11, s0
	global_wb scope:SCOPE_SE
	s_wait_dscnt 0x0
	v_add_co_u32 v8, s0, s8, v8
	s_wait_alu 0xf1ff
	v_add_co_ci_u32_e64 v9, s0, s9, v9, s0
	s_barrier_signal -1
	s_barrier_wait -1
	global_inv scope:SCOPE_SE
	s_clause 0x3
	global_load_b64 v[30:31], v[4:5], off offset:1188
	global_load_b64 v[32:33], v[6:7], off offset:1188
	;; [unrolled: 1-line block ×4, first 2 shown]
	v_dual_mov_b32 v9, v1 :: v_dual_add_nc_u32 v8, 0x78, v0
	v_add_nc_u32_e32 v13, 0x276, v24
	v_lshrrev_b16 v10, 2, v16
	v_mov_b32_e32 v11, v1
	v_lshlrev_b32_e32 v17, 2, v17
	v_lshlrev_b64_e32 v[8:9], 2, v[8:9]
	v_lshrrev_b16 v15, 2, v13
	v_and_b32_e32 v14, 0xffff, v10
	v_add_nc_u32_e32 v10, 0x12c, v0
	s_delay_alu instid0(VALU_DEP_3) | instskip(SKIP_1) | instid1(VALU_DEP_3)
	v_and_b32_e32 v15, 0xffff, v15
	v_add_co_u32 v8, s0, s8, v8
	v_lshlrev_b64_e32 v[10:11], 2, v[10:11]
	s_wait_alu 0xf1ff
	v_add_co_ci_u32_e64 v9, s0, s9, v9, s0
	v_mul_u32_u24_e32 v14, 0x6d3b, v14
	v_mul_u32_u24_e32 v15, 0x6d3b, v15
	global_load_b64 v[38:39], v[8:9], off offset:1188
	v_add_co_u32 v8, s0, s8, v10
	v_lshrrev_b32_e32 v18, 21, v14
	v_add_nc_u32_e32 v14, 0x2d0, v24
	s_wait_alu 0xf1ff
	v_add_co_ci_u32_e64 v9, s0, s9, v11, s0
	v_lshrrev_b32_e32 v10, 21, v15
	v_add_nc_u32_e32 v15, 0x32a, v24
	v_lshrrev_b16 v11, 2, v14
	global_load_b64 v[40:41], v[8:9], off offset:1188
	v_mul_lo_u16 v19, 0x12c, v18
	v_mul_lo_u16 v8, 0x12c, v10
	v_lshrrev_b16 v10, 2, v15
	v_and_b32_e32 v9, 0xffff, v11
	v_cmp_lt_u32_e64 s0, 29, v24
	v_sub_nc_u16 v19, v16, v19
	v_sub_nc_u16 v8, v13, v8
	v_mul_u32_u24_e32 v18, 0xe10, v18
	v_mul_u32_u24_e32 v9, 0x6d3b, v9
	s_delay_alu instid0(VALU_DEP_4) | instskip(NEXT) | instid1(VALU_DEP_4)
	v_and_b32_e32 v19, 0xffff, v19
	v_and_b32_e32 v20, 0xffff, v8
	;; [unrolled: 1-line block ×3, first 2 shown]
	s_delay_alu instid0(VALU_DEP_4) | instskip(NEXT) | instid1(VALU_DEP_4)
	v_lshrrev_b32_e32 v9, 21, v9
	v_lshlrev_b32_e32 v11, 3, v19
	s_delay_alu instid0(VALU_DEP_4) | instskip(NEXT) | instid1(VALU_DEP_4)
	v_lshlrev_b32_e32 v10, 3, v20
	v_mul_u32_u24_e32 v8, 0x6d3b, v8
	s_delay_alu instid0(VALU_DEP_4)
	v_mul_lo_u16 v9, 0x12c, v9
	v_lshlrev_b32_e32 v19, 2, v19
	s_clause 0x1
	global_load_b64 v[42:43], v11, s[8:9] offset:1188
	global_load_b64 v[44:45], v10, s[8:9] offset:1188
	v_lshrrev_b32_e32 v8, 21, v8
	v_sub_nc_u16 v9, v14, v9
	s_delay_alu instid0(VALU_DEP_2) | instskip(NEXT) | instid1(VALU_DEP_2)
	v_mul_lo_u16 v8, 0x12c, v8
	v_and_b32_e32 v22, 0xffff, v9
	s_delay_alu instid0(VALU_DEP_2) | instskip(NEXT) | instid1(VALU_DEP_2)
	v_sub_nc_u16 v8, v15, v8
	v_lshlrev_b32_e32 v9, 3, v22
	s_delay_alu instid0(VALU_DEP_2)
	v_and_b32_e32 v21, 0xffff, v8
	global_load_b64 v[46:47], v9, s[8:9] offset:1188
	v_lshlrev_b32_e32 v8, 3, v21
	v_lshl_add_u32 v21, v21, 2, 0
	global_load_b64 v[48:49], v8, s[8:9] offset:1188
	ds_load_2addr_b32 v[50:51], v60 offset1:90
	ds_load_2addr_b32 v[52:53], v25 offset0:132 offset1:222
	ds_load_2addr_b32 v[54:55], v61 offset0:8 offset1:98
	;; [unrolled: 1-line block ×10, first 2 shown]
	s_wait_dscnt 0xa
	v_lshrrev_b32_e32 v23, 16, v50
	s_wait_dscnt 0x9
	v_lshrrev_b32_e32 v88, 16, v52
	;; [unrolled: 2-line block ×3, first 2 shown]
	v_lshrrev_b32_e32 v82, 16, v53
	v_lshrrev_b32_e32 v83, 16, v55
	s_wait_dscnt 0x7
	v_lshrrev_b32_e32 v84, 16, v56
	s_wait_dscnt 0x6
	v_lshrrev_b32_e32 v85, 16, v58
	v_lshrrev_b32_e32 v86, 16, v57
	;; [unrolled: 1-line block ×3, first 2 shown]
	s_wait_dscnt 0x5
	v_lshrrev_b32_e32 v90, 16, v74
	s_wait_dscnt 0x4
	v_lshrrev_b32_e32 v91, 16, v76
	v_lshrrev_b32_e32 v92, 16, v75
	;; [unrolled: 1-line block ×3, first 2 shown]
	s_wait_loadcnt 0x8
	v_lshrrev_b32_e32 v96, 16, v32
	v_lshrrev_b32_e32 v94, 16, v30
	;; [unrolled: 1-line block ×4, first 2 shown]
	s_wait_loadcnt 0x7
	v_lshrrev_b32_e32 v98, 16, v34
	v_lshrrev_b32_e32 v99, 16, v35
	s_wait_loadcnt 0x6
	v_lshrrev_b32_e32 v100, 16, v36
	v_mul_f16_e32 v102, v94, v52
	v_mul_f16_e32 v103, v95, v54
	;; [unrolled: 1-line block ×4, first 2 shown]
	v_lshrrev_b32_e32 v101, 16, v37
	v_mul_f16_e32 v104, v82, v96
	v_mul_f16_e32 v105, v83, v97
	;; [unrolled: 1-line block ×8, first 2 shown]
	v_fma_f16 v88, v30, v88, -v102
	v_fma_f16 v89, v31, v89, -v103
	v_fmac_f16_e32 v94, v30, v52
	v_fmac_f16_e32 v95, v31, v54
	v_mul_f16_e32 v30, v57, v100
	s_wait_loadcnt 0x5
	v_lshrrev_b32_e32 v31, 16, v38
	v_mul_f16_e32 v96, v53, v96
	v_fmac_f16_e32 v104, v53, v32
	v_fmac_f16_e32 v105, v55, v33
	v_fma_f16 v53, v83, v33, -v97
	v_fma_f16 v54, v84, v34, -v106
	v_fmac_f16_e32 v98, v56, v34
	v_fmac_f16_e32 v99, v58, v35
	v_mul_f16_e32 v34, v87, v101
	v_fmac_f16_e32 v108, v57, v36
	v_lshrrev_b32_e32 v33, 16, v39
	v_fma_f16 v36, v86, v36, -v30
	v_mul_f16_e32 v58, v90, v31
	v_mul_f16_e32 v30, v74, v31
	v_fma_f16 v52, v82, v32, -v96
	v_fmac_f16_e32 v34, v59, v37
	v_mul_f16_e32 v32, v59, v101
	v_mul_f16_e32 v59, v91, v33
	s_wait_loadcnt 0x4
	v_lshrrev_b32_e32 v31, 16, v40
	v_fmac_f16_e32 v58, v74, v38
	v_fma_f16 v38, v90, v38, -v30
	v_mul_f16_e32 v30, v76, v33
	v_fma_f16 v37, v87, v37, -v32
	v_fmac_f16_e32 v59, v76, v39
	v_mul_f16_e32 v74, v92, v31
	v_lshrrev_b32_e32 v32, 16, v41
	v_mul_f16_e32 v33, v75, v31
	v_fma_f16 v39, v91, v39, -v30
	ds_load_2addr_b32 v[30:31], v72 offset0:84 offset1:174
	v_fmac_f16_e32 v74, v75, v40
	v_mul_f16_e32 v75, v93, v32
	v_fma_f16 v40, v92, v40, -v33
	v_mul_f16_e32 v76, v77, v32
	s_wait_loadcnt 0x3
	v_lshrrev_b32_e32 v82, 16, v42
	ds_load_2addr_b32 v[32:33], v73 offset0:88 offset1:178
	v_fma_f16 v55, v85, v35, -v107
	s_wait_dscnt 0x3
	v_lshrrev_b32_e32 v35, 16, v78
	s_wait_dscnt 0x2
	v_lshrrev_b32_e32 v56, 16, v80
	v_fmac_f16_e32 v75, v77, v41
	v_lshrrev_b32_e32 v77, 16, v43
	v_fma_f16 v41, v93, v41, -v76
	v_mul_f16_e32 v76, v78, v82
	v_lshrrev_b32_e32 v57, 16, v79
	v_lshrrev_b32_e32 v83, 16, v81
	v_mul_f16_e32 v82, v35, v82
	v_mul_f16_e32 v84, v80, v77
	s_wait_loadcnt 0x2
	v_lshrrev_b32_e32 v85, 16, v44
	v_fma_f16 v35, v35, v42, -v76
	v_mul_f16_e32 v76, v56, v77
	v_lshrrev_b32_e32 v77, 16, v45
	v_fma_f16 v56, v56, v43, -v84
	v_mul_f16_e32 v84, v57, v85
	v_fmac_f16_e32 v82, v78, v42
	v_fmac_f16_e32 v76, v80, v43
	v_mul_f16_e32 v42, v83, v77
	s_wait_dscnt 0x1
	v_lshrrev_b32_e32 v43, 16, v30
	v_mul_f16_e32 v78, v79, v85
	v_mul_f16_e32 v77, v81, v77
	s_wait_loadcnt 0x1
	v_lshrrev_b32_e32 v80, 16, v46
	v_lshrrev_b32_e32 v85, 16, v47
	v_fmac_f16_e32 v84, v79, v44
	s_wait_dscnt 0x0
	v_lshrrev_b32_e32 v79, 16, v32
	v_fmac_f16_e32 v42, v81, v45
	v_lshrrev_b32_e32 v81, 16, v31
	v_fma_f16 v44, v57, v44, -v78
	v_fma_f16 v45, v83, v45, -v77
	v_mul_f16_e32 v57, v30, v80
	v_mul_f16_e32 v78, v32, v85
	;; [unrolled: 1-line block ×3, first 2 shown]
	s_wait_loadcnt 0x0
	v_lshrrev_b32_e32 v83, 16, v48
	v_lshrrev_b32_e32 v77, 16, v33
	v_fma_f16 v43, v43, v46, -v57
	v_mul_f16_e32 v57, v79, v85
	v_fma_f16 v78, v79, v47, -v78
	v_lshrrev_b32_e32 v79, 16, v49
	v_mul_f16_e32 v85, v81, v83
	v_fmac_f16_e32 v80, v30, v46
	v_mul_f16_e32 v30, v31, v83
	v_fmac_f16_e32 v57, v32, v47
	;; [unrolled: 2-line block ×3, first 2 shown]
	v_mul_f16_e32 v31, v33, v79
	v_add_f16_e32 v32, v94, v95
	v_fma_f16 v48, v81, v48, -v30
	v_add_f16_e32 v30, v50, v94
	v_fmac_f16_e32 v47, v33, v49
	v_fma_f16 v49, v77, v49, -v31
	v_add_f16_e32 v31, v88, v89
	v_fma_f16 v50, -0.5, v32, v50
	v_sub_f16_e32 v32, v88, v89
	v_add_f16_e32 v33, v30, v95
	v_add_f16_e32 v30, v23, v88
	v_fmac_f16_e32 v23, -0.5, v31
	v_sub_f16_e32 v31, v94, v95
	v_fmamk_f16 v77, v32, 0xbaee, v50
	v_fmac_f16_e32 v50, 0x3aee, v32
	v_add_f16_e32 v32, v30, v89
	v_add_f16_e32 v30, v104, v105
	v_lshrrev_b32_e32 v46, 16, v51
	v_fmamk_f16 v81, v31, 0x3aee, v23
	v_add_f16_e32 v87, v51, v104
	v_fmac_f16_e32 v23, 0xbaee, v31
	v_add_f16_e32 v31, v52, v53
	v_fmac_f16_e32 v51, -0.5, v30
	v_sub_f16_e32 v30, v52, v53
	v_add_f16_e32 v52, v46, v52
	v_lshrrev_b32_e32 v83, 16, v10
	v_fmac_f16_e32 v46, -0.5, v31
	v_sub_f16_e32 v31, v104, v105
	v_fmamk_f16 v88, v30, 0xbaee, v51
	v_fmac_f16_e32 v51, 0x3aee, v30
	v_add_f16_e32 v30, v98, v99
	v_add_f16_e32 v52, v52, v53
	v_fmamk_f16 v53, v31, 0x3aee, v46
	v_add_f16_e32 v89, v10, v98
	v_fmac_f16_e32 v46, 0xbaee, v31
	v_add_f16_e32 v31, v54, v55
	v_fma_f16 v10, -0.5, v30, v10
	v_sub_f16_e32 v30, v54, v55
	v_add_f16_e32 v54, v83, v54
	v_lshrrev_b32_e32 v86, 16, v11
	v_fmac_f16_e32 v83, -0.5, v31
	v_sub_f16_e32 v31, v98, v99
	v_fmamk_f16 v90, v30, 0xbaee, v10
	v_fmac_f16_e32 v10, 0x3aee, v30
	v_add_f16_e32 v30, v108, v34
	v_add_f16_e32 v54, v54, v55
	v_fmamk_f16 v55, v31, 0x3aee, v83
	v_add_f16_e32 v91, v11, v108
	v_fmac_f16_e32 v83, 0xbaee, v31
	v_add_f16_e32 v31, v36, v37
	v_fmac_f16_e32 v11, -0.5, v30
	v_sub_f16_e32 v30, v36, v37
	v_add_f16_e32 v91, v91, v34
	v_add_f16_e32 v36, v86, v36
	v_fmac_f16_e32 v86, -0.5, v31
	v_sub_f16_e32 v31, v108, v34
	v_fmamk_f16 v34, v30, 0xbaee, v11
	v_fmac_f16_e32 v11, 0x3aee, v30
	v_add_f16_e32 v30, v58, v59
	v_lshrrev_b32_e32 v79, 16, v8
	v_add_f16_e32 v36, v36, v37
	v_add_f16_e32 v37, v38, v39
	v_fmamk_f16 v92, v31, 0x3aee, v86
	v_fmac_f16_e32 v86, 0xbaee, v31
	v_add_f16_e32 v31, v8, v58
	v_fma_f16 v8, -0.5, v30, v8
	v_sub_f16_e32 v30, v38, v39
	v_add_f16_e32 v87, v87, v105
	v_add_f16_e32 v38, v79, v38
	v_fmac_f16_e32 v79, -0.5, v37
	v_sub_f16_e32 v37, v58, v59
	v_add_f16_e32 v58, v31, v59
	v_fmamk_f16 v59, v30, 0xbaee, v8
	v_fmac_f16_e32 v8, 0x3aee, v30
	ds_load_2addr_b32 v[30:31], v70 offset0:28 offset1:118
	v_add_f16_e32 v38, v38, v39
	v_fmamk_f16 v39, v37, 0x3aee, v79
	v_fmac_f16_e32 v79, 0xbaee, v37
	v_pack_b32_f16 v37, v33, v32
	v_pack_b32_f16 v52, v87, v52
	ds_load_2addr_b32 v[32:33], v71 offset0:80 offset1:170
	global_wb scope:SCOPE_SE
	s_wait_dscnt 0x0
	s_barrier_signal -1
	s_barrier_wait -1
	global_inv scope:SCOPE_SE
	ds_store_2addr_b32 v60, v37, v52 offset1:90
	v_add_f16_e32 v37, v74, v75
	v_lshrrev_b32_e32 v52, 16, v9
	v_pack_b32_f16 v46, v51, v46
	v_add_f16_e32 v51, v40, v41
	v_add_f16_e32 v87, v9, v74
	v_fmac_f16_e32 v9, -0.5, v37
	v_sub_f16_e32 v37, v40, v41
	v_add_f16_e32 v40, v52, v40
	v_fmac_f16_e32 v52, -0.5, v51
	v_lshrrev_b32_e32 v51, 16, v30
	v_add_f16_e32 v87, v87, v75
	v_sub_f16_e32 v74, v74, v75
	v_fmamk_f16 v75, v37, 0xbaee, v9
	v_fmac_f16_e32 v9, 0x3aee, v37
	v_add_f16_e32 v37, v35, v56
	v_add_f16_e32 v93, v82, v76
	;; [unrolled: 1-line block ×3, first 2 shown]
	v_fmamk_f16 v41, v74, 0x3aee, v52
	v_fmac_f16_e32 v52, 0xbaee, v74
	v_add_f16_e32 v74, v30, v82
	v_fma_f16 v30, -0.5, v93, v30
	v_sub_f16_e32 v93, v35, v56
	v_add_f16_e32 v35, v51, v35
	v_fmac_f16_e32 v51, -0.5, v37
	v_sub_f16_e32 v37, v82, v76
	v_add_f16_e32 v74, v74, v76
	v_fmamk_f16 v76, v93, 0xbaee, v30
	v_fmac_f16_e32 v30, 0x3aee, v93
	v_add_f16_e32 v35, v35, v56
	v_fmamk_f16 v56, v37, 0x3aee, v51
	v_add_f16_e32 v82, v84, v42
	v_fmac_f16_e32 v51, 0xbaee, v37
	v_lshrrev_b32_e32 v37, 16, v31
	v_add_f16_e32 v93, v44, v45
	v_add_f16_e32 v94, v31, v84
	v_fmac_f16_e32 v31, -0.5, v82
	v_sub_f16_e32 v82, v44, v45
	v_add_f16_e32 v44, v37, v44
	v_fmac_f16_e32 v37, -0.5, v93
	v_sub_f16_e32 v84, v84, v42
	v_add_f16_e32 v89, v89, v99
	v_add_f16_e32 v42, v94, v42
	v_fmamk_f16 v93, v82, 0xbaee, v31
	v_fmac_f16_e32 v31, 0x3aee, v82
	v_add_f16_e32 v44, v44, v45
	v_fmamk_f16 v45, v84, 0x3aee, v37
	v_add_f16_e32 v82, v80, v57
	v_fmac_f16_e32 v37, 0xbaee, v84
	v_lshrrev_b32_e32 v84, 16, v32
	v_add_f16_e32 v94, v43, v78
	v_pack_b32_f16 v23, v50, v23
	v_pack_b32_f16 v77, v77, v81
	;; [unrolled: 1-line block ×3, first 2 shown]
	s_wait_alu 0xf1ff
	v_cndmask_b32_e64 v54, 0, 0xe10, s0
	v_add_f16_e32 v95, v32, v80
	v_fma_f16 v32, -0.5, v82, v32
	v_sub_f16_e32 v82, v43, v78
	v_add_f16_e32 v43, v84, v43
	v_fmac_f16_e32 v84, -0.5, v94
	v_sub_f16_e32 v80, v80, v57
	v_pack_b32_f16 v53, v88, v53
	ds_store_2addr_b32 v70, v23, v46 offset0:88 offset1:178
	ds_store_2addr_b32 v62, v50, v77 offset0:52 offset1:172
	v_pack_b32_f16 v23, v90, v55
	v_pack_b32_f16 v10, v10, v83
	v_add3_u32 v17, 0, v54, v17
	v_pack_b32_f16 v36, v91, v36
	v_pack_b32_f16 v34, v34, v92
	;; [unrolled: 1-line block ×3, first 2 shown]
	v_add_f16_e32 v57, v95, v57
	v_fmamk_f16 v94, v82, 0xbaee, v32
	v_fmac_f16_e32 v32, 0x3aee, v82
	v_add_f16_e32 v43, v43, v78
	v_fmamk_f16 v78, v80, 0x3aee, v84
	v_add_f16_e32 v82, v85, v47
	v_fmac_f16_e32 v84, 0xbaee, v80
	v_lshrrev_b32_e32 v80, 16, v33
	v_add_f16_e32 v95, v48, v49
	ds_store_2addr_b32 v65, v53, v23 offset0:134 offset1:224
	ds_store_b32 v60, v10 offset:3120
	ds_store_b32 v17, v36
	ds_store_b32 v17, v34 offset:1200
	ds_store_b32 v17, v11 offset:2400
	v_pack_b32_f16 v10, v58, v38
	v_pack_b32_f16 v11, v87, v40
	v_add_nc_u32_e32 v17, 0xe00, v60
	v_add_f16_e32 v96, v33, v85
	v_fmac_f16_e32 v33, -0.5, v82
	v_sub_f16_e32 v82, v48, v49
	v_add_f16_e32 v48, v80, v48
	v_fmac_f16_e32 v80, -0.5, v95
	v_sub_f16_e32 v85, v85, v47
	v_pack_b32_f16 v23, v59, v39
	ds_store_2addr_b32 v17, v10, v11 offset0:64 offset1:154
	v_pack_b32_f16 v10, v75, v41
	v_pack_b32_f16 v8, v8, v79
	;; [unrolled: 1-line block ×3, first 2 shown]
	v_add3_u32 v11, 0, v18, v19
	v_pack_b32_f16 v17, v74, v35
	v_pack_b32_f16 v18, v76, v56
	;; [unrolled: 1-line block ×3, first 2 shown]
	v_add_f16_e32 v47, v96, v47
	v_fmamk_f16 v95, v82, 0xbaee, v33
	v_fmac_f16_e32 v33, 0x3aee, v82
	v_add_f16_e32 v48, v48, v49
	v_fmamk_f16 v49, v85, 0x3aee, v80
	v_fmac_f16_e32 v80, 0xbaee, v85
	ds_store_2addr_b32 v66, v23, v10 offset0:108 offset1:198
	ds_store_2addr_b32 v72, v8, v9 offset0:24 offset1:114
	ds_store_b32 v11, v17
	ds_store_b32 v11, v18 offset:1200
	ds_store_b32 v11, v19 offset:2400
	v_lshl_add_u32 v8, v20, 2, 0
	v_pack_b32_f16 v9, v42, v44
	v_pack_b32_f16 v10, v93, v45
	;; [unrolled: 1-line block ×3, first 2 shown]
	v_lshl_add_u32 v17, v22, 2, 0
	v_pack_b32_f16 v18, v57, v43
	v_pack_b32_f16 v19, v94, v78
	;; [unrolled: 1-line block ×6, first 2 shown]
	ds_store_b32 v8, v9 offset:7200
	ds_store_b32 v8, v10 offset:8400
	;; [unrolled: 1-line block ×9, first 2 shown]
	global_wb scope:SCOPE_SE
	s_wait_dscnt 0x0
	s_barrier_signal -1
	s_barrier_wait -1
	global_inv scope:SCOPE_SE
	s_clause 0x1
	global_load_b64 v[4:5], v[4:5], off offset:3588
	global_load_b64 v[6:7], v[6:7], off offset:3588
	v_dual_mov_b32 v9, v1 :: v_dual_lshlrev_b32 v8, 1, v12
	global_load_b64 v[2:3], v[2:3], off offset:3588
	v_dual_mov_b32 v11, v1 :: v_dual_add_nc_u32 v10, 0x2d0, v0
	v_add_nc_u32_e32 v0, 0x384, v0
	v_lshlrev_b64_e32 v[8:9], 2, v[8:9]
	s_delay_alu instid0(VALU_DEP_3) | instskip(NEXT) | instid1(VALU_DEP_3)
	v_lshlrev_b64_e32 v[10:11], 2, v[10:11]
	v_lshlrev_b64_e32 v[17:18], 2, v[0:1]
	v_lshlrev_b32_e32 v0, 1, v16
	s_delay_alu instid0(VALU_DEP_4)
	v_add_co_u32 v8, s0, s8, v8
	s_wait_alu 0xf1ff
	v_add_co_ci_u32_e64 v9, s0, s9, v9, s0
	v_add_co_u32 v10, s0, s8, v10
	s_wait_alu 0xf1ff
	v_add_co_ci_u32_e64 v11, s0, s9, v11, s0
	global_load_b64 v[8:9], v[8:9], off offset:3588
	v_add_co_u32 v16, s0, s8, v17
	global_load_b64 v[10:11], v[10:11], off offset:3588
	s_wait_alu 0xf1ff
	v_add_co_ci_u32_e64 v17, s0, s9, v18, s0
	v_lshlrev_b64_e32 v[18:19], 2, v[0:1]
	v_lshlrev_b32_e32 v0, 1, v13
	global_load_b64 v[16:17], v[16:17], off offset:3588
	v_add_co_u32 v12, s0, s8, v18
	s_wait_alu 0xf1ff
	v_add_co_ci_u32_e64 v13, s0, s9, v19, s0
	v_lshlrev_b64_e32 v[18:19], 2, v[0:1]
	v_lshlrev_b32_e32 v0, 1, v14
	global_load_b64 v[12:13], v[12:13], off offset:3588
	v_lshlrev_b64_e32 v[20:21], 2, v[0:1]
	v_add_co_u32 v18, s0, s8, v18
	v_lshlrev_b32_e32 v0, 1, v15
	s_wait_alu 0xf1ff
	v_add_co_ci_u32_e64 v19, s0, s9, v19, s0
	s_delay_alu instid0(VALU_DEP_4) | instskip(SKIP_4) | instid1(VALU_DEP_1)
	v_add_co_u32 v14, s0, s8, v20
	s_wait_alu 0xf1ff
	v_add_co_ci_u32_e64 v15, s0, s9, v21, s0
	global_load_b64 v[18:19], v[18:19], off offset:3588
	v_lshlrev_b64_e32 v[20:21], 2, v[0:1]
	v_add_co_u32 v20, s0, s8, v20
	s_wait_alu 0xf1ff
	s_delay_alu instid0(VALU_DEP_2)
	v_add_co_ci_u32_e64 v21, s0, s9, v21, s0
	s_clause 0x1
	global_load_b64 v[20:21], v[20:21], off offset:3588
	global_load_b64 v[14:15], v[14:15], off offset:3588
	ds_load_2addr_b32 v[22:23], v60 offset1:90
	ds_load_2addr_b32 v[30:31], v61 offset0:8 offset1:98
	ds_load_2addr_b32 v[32:33], v62 offset0:52 offset1:142
	;; [unrolled: 1-line block ×11, first 2 shown]
	ds_load_u16 v53, v60 offset:3962
	s_wait_dscnt 0xc
	v_lshrrev_b32_e32 v0, 16, v22
	s_wait_dscnt 0xb
	v_lshrrev_b32_e32 v91, 16, v30
	v_lshrrev_b32_e32 v54, 16, v31
	s_wait_dscnt 0x9
	v_lshrrev_b32_e32 v56, 16, v34
	s_wait_dscnt 0x8
	v_lshrrev_b32_e32 v57, 16, v36
	v_lshrrev_b32_e32 v59, 16, v35
	;; [unrolled: 1-line block ×3, first 2 shown]
	s_wait_dscnt 0x6
	v_lshrrev_b32_e32 v76, 16, v40
	s_wait_dscnt 0x5
	v_lshrrev_b32_e32 v77, 16, v42
	v_lshrrev_b32_e32 v79, 16, v41
	;; [unrolled: 1-line block ×3, first 2 shown]
	s_wait_dscnt 0x1
	v_lshrrev_b32_e32 v89, 16, v50
	v_lshrrev_b32_e32 v82, 16, v46
	;; [unrolled: 1-line block ×12, first 2 shown]
	s_wait_loadcnt 0x9
	v_lshrrev_b32_e32 v88, 16, v5
	v_lshrrev_b32_e32 v85, 16, v4
	s_wait_loadcnt 0x8
	v_lshrrev_b32_e32 v92, 16, v6
	s_delay_alu instid0(VALU_DEP_3) | instskip(NEXT) | instid1(VALU_DEP_3)
	v_mul_f16_e32 v93, v88, v30
	v_mul_f16_e32 v90, v85, v50
	;; [unrolled: 1-line block ×4, first 2 shown]
	s_delay_alu instid0(VALU_DEP_4)
	v_fma_f16 v91, v5, v91, -v93
	v_lshrrev_b32_e32 v93, 16, v7
	v_fma_f16 v89, v4, v89, -v90
	s_wait_dscnt 0x0
	v_mul_f16_e32 v90, v53, v92
	v_fmac_f16_e32 v85, v4, v50
	v_fmac_f16_e32 v88, v5, v30
	v_mul_f16_e32 v50, v54, v93
	v_mul_f16_e32 v30, v92, v51
	v_fmac_f16_e32 v90, v6, v51
	v_mul_f16_e32 v51, v31, v93
	s_wait_loadcnt 0x7
	v_lshrrev_b32_e32 v92, 16, v2
	v_fmac_f16_e32 v50, v31, v7
	v_lshrrev_b32_e32 v31, 16, v3
	v_fma_f16 v30, v53, v6, -v30
	v_fma_f16 v51, v54, v7, -v51
	v_mul_f16_e32 v53, v56, v92
	v_mul_f16_e32 v54, v34, v92
	;; [unrolled: 1-line block ×3, first 2 shown]
	s_wait_loadcnt 0x6
	v_lshrrev_b32_e32 v93, 16, v8
	v_mul_f16_e32 v31, v57, v31
	v_fmac_f16_e32 v53, v34, v2
	v_fma_f16 v34, v56, v2, -v54
	v_fma_f16 v54, v57, v3, -v92
	v_mul_f16_e32 v56, v59, v93
	v_lshrrev_b32_e32 v57, 16, v9
	v_fmac_f16_e32 v31, v36, v3
	v_mul_f16_e32 v36, v35, v93
	s_wait_loadcnt 0x4
	v_lshrrev_b32_e32 v93, 16, v16
	v_fmac_f16_e32 v56, v35, v8
	v_mul_f16_e32 v35, v74, v57
	ds_load_2addr_b32 v[6:7], v72 offset0:84 offset1:174
	v_fma_f16 v8, v59, v8, -v36
	v_mul_f16_e32 v36, v37, v57
	v_lshrrev_b32_e32 v57, 16, v10
	v_fmac_f16_e32 v35, v37, v9
	v_lshrrev_b32_e32 v37, 16, v11
	ds_load_2addr_b32 v[2:3], v73 offset0:88 offset1:178
	v_fma_f16 v9, v74, v9, -v36
	v_mul_f16_e32 v36, v76, v57
	v_mul_f16_e32 v57, v40, v57
	;; [unrolled: 1-line block ×4, first 2 shown]
	ds_load_2addr_b32 v[4:5], v71 offset0:80 offset1:170
	v_fmac_f16_e32 v36, v40, v10
	v_lshrrev_b32_e32 v40, 16, v17
	v_fmac_f16_e32 v74, v42, v11
	v_fma_f16 v11, v77, v11, -v37
	v_mul_f16_e32 v37, v79, v93
	v_mul_f16_e32 v42, v41, v93
	v_fma_f16 v10, v76, v10, -v57
	s_wait_dscnt 0x2
	v_lshrrev_b32_e32 v59, 16, v6
	v_lshrrev_b32_e32 v77, 16, v7
	v_fmac_f16_e32 v37, v41, v16
	v_mul_f16_e32 v41, v80, v40
	v_fma_f16 v16, v79, v16, -v42
	s_wait_loadcnt 0x3
	v_lshrrev_b32_e32 v42, 16, v12
	v_mul_f16_e32 v40, v43, v40
	s_wait_dscnt 0x1
	v_lshrrev_b32_e32 v57, 16, v2
	v_fmac_f16_e32 v41, v43, v17
	v_lshrrev_b32_e32 v43, 16, v13
	v_mul_f16_e32 v79, v82, v42
	v_fma_f16 v17, v80, v17, -v40
	v_mul_f16_e32 v40, v46, v42
	v_lshrrev_b32_e32 v42, 16, v3
	v_mul_f16_e32 v80, v48, v43
	v_fmac_f16_e32 v79, v46, v12
	s_wait_loadcnt 0x2
	v_lshrrev_b32_e32 v46, 16, v18
	v_fma_f16 v12, v82, v12, -v40
	v_mul_f16_e32 v40, v83, v43
	v_fma_f16 v43, v83, v13, -v80
	v_lshrrev_b32_e32 v80, 16, v19
	v_mul_f16_e32 v82, v86, v46
	v_mul_f16_e32 v46, v47, v46
	v_fmac_f16_e32 v40, v48, v13
	s_wait_loadcnt 0x0
	v_lshrrev_b32_e32 v13, 16, v14
	v_mul_f16_e32 v48, v87, v80
	v_fmac_f16_e32 v82, v47, v18
	v_fma_f16 v18, v86, v18, -v46
	v_mul_f16_e32 v46, v49, v80
	v_mul_f16_e32 v47, v59, v13
	v_fmac_f16_e32 v48, v49, v19
	v_lshrrev_b32_e32 v49, 16, v15
	v_mul_f16_e32 v13, v6, v13
	v_fma_f16 v19, v87, v19, -v46
	v_fmac_f16_e32 v47, v6, v14
	v_lshrrev_b32_e32 v6, 16, v20
	v_mul_f16_e32 v46, v57, v49
	v_fma_f16 v13, v59, v14, -v13
	v_mul_f16_e32 v14, v2, v49
	v_lshrrev_b32_e32 v49, 16, v21
	v_mul_f16_e32 v59, v77, v6
	v_fmac_f16_e32 v46, v2, v15
	v_mul_f16_e32 v2, v7, v6
	v_fma_f16 v6, v57, v15, -v14
	v_mul_f16_e32 v14, v42, v49
	v_fmac_f16_e32 v59, v7, v20
	v_mul_f16_e32 v7, v3, v49
	v_add_f16_e32 v15, v85, v88
	v_fma_f16 v2, v77, v20, -v2
	v_fmac_f16_e32 v14, v3, v21
	v_add_f16_e32 v3, v22, v85
	v_fma_f16 v7, v42, v21, -v7
	v_add_f16_e32 v20, v89, v91
	v_fma_f16 v15, -0.5, v15, v22
	v_sub_f16_e32 v21, v89, v91
	v_add_f16_e32 v22, v0, v89
	v_add_f16_e32 v57, v23, v90
	v_fmac_f16_e32 v0, -0.5, v20
	v_sub_f16_e32 v20, v85, v88
	v_fmamk_f16 v42, v21, 0xbaee, v15
	v_fmac_f16_e32 v15, 0x3aee, v21
	v_add_f16_e32 v21, v22, v91
	v_add_f16_e32 v22, v90, v50
	v_fmamk_f16 v49, v20, 0x3aee, v0
	v_fmac_f16_e32 v0, 0xbaee, v20
	v_add_f16_e32 v20, v30, v51
	v_add_f16_e32 v57, v57, v50
	v_fmac_f16_e32 v23, -0.5, v22
	v_sub_f16_e32 v22, v30, v51
	v_add_f16_e32 v30, v52, v30
	v_fmac_f16_e32 v52, -0.5, v20
	v_sub_f16_e32 v20, v90, v50
	v_add_f16_e32 v77, v32, v53
	v_fmamk_f16 v50, v22, 0xbaee, v23
	v_fmac_f16_e32 v23, 0x3aee, v22
	v_add_f16_e32 v22, v30, v51
	v_add_f16_e32 v30, v53, v31
	v_fmamk_f16 v51, v20, 0x3aee, v52
	v_fmac_f16_e32 v52, 0xbaee, v20
	v_add_f16_e32 v20, v34, v54
	v_add_f16_e32 v77, v77, v31
	v_fma_f16 v30, -0.5, v30, v32
	v_sub_f16_e32 v32, v34, v54
	v_add_f16_e32 v34, v55, v34
	v_fmac_f16_e32 v55, -0.5, v20
	v_sub_f16_e32 v20, v53, v31
	s_wait_dscnt 0x0
	v_lshrrev_b32_e32 v92, 16, v4
	v_fmamk_f16 v31, v32, 0xbaee, v30
	v_fmac_f16_e32 v30, 0x3aee, v32
	v_add_f16_e32 v32, v34, v54
	v_add_f16_e32 v34, v56, v35
	v_fmamk_f16 v53, v20, 0x3aee, v55
	v_add_f16_e32 v54, v33, v56
	v_fmac_f16_e32 v55, 0xbaee, v20
	v_add_f16_e32 v20, v8, v9
	v_fmac_f16_e32 v33, -0.5, v34
	v_sub_f16_e32 v34, v8, v9
	v_add_f16_e32 v8, v58, v8
	v_add_f16_e32 v54, v54, v35
	v_fmac_f16_e32 v58, -0.5, v20
	v_sub_f16_e32 v20, v56, v35
	v_fmamk_f16 v35, v34, 0xbaee, v33
	v_add_f16_e32 v8, v8, v9
	v_add_f16_e32 v9, v36, v74
	v_fmac_f16_e32 v33, 0x3aee, v34
	v_fmamk_f16 v34, v20, 0x3aee, v58
	v_add_f16_e32 v56, v38, v36
	v_fmac_f16_e32 v58, 0xbaee, v20
	v_add_f16_e32 v20, v10, v11
	v_fma_f16 v9, -0.5, v9, v38
	v_sub_f16_e32 v38, v10, v11
	v_add_f16_e32 v10, v75, v10
	v_add_f16_e32 v56, v56, v74
	v_fmac_f16_e32 v75, -0.5, v20
	v_sub_f16_e32 v20, v36, v74
	v_fmamk_f16 v36, v38, 0xbaee, v9
	v_add_f16_e32 v10, v10, v11
	v_add_f16_e32 v11, v37, v41
	v_fmac_f16_e32 v9, 0x3aee, v38
	v_fmamk_f16 v38, v20, 0x3aee, v75
	v_add_f16_e32 v74, v39, v37
	v_fmac_f16_e32 v75, 0xbaee, v20
	v_add_f16_e32 v20, v16, v17
	v_fmac_f16_e32 v39, -0.5, v11
	v_sub_f16_e32 v11, v16, v17
	v_add_f16_e32 v16, v78, v16
	v_add_f16_e32 v74, v74, v41
	v_fmac_f16_e32 v78, -0.5, v20
	v_sub_f16_e32 v20, v37, v41
	v_fmamk_f16 v37, v11, 0xbaee, v39
	v_fmac_f16_e32 v39, 0x3aee, v11
	v_add_f16_e32 v11, v16, v17
	v_add_f16_e32 v16, v79, v40
	v_fmamk_f16 v17, v20, 0x3aee, v78
	v_add_f16_e32 v41, v44, v79
	v_fmac_f16_e32 v78, 0xbaee, v20
	v_add_f16_e32 v20, v12, v43
	v_fma_f16 v16, -0.5, v16, v44
	v_sub_f16_e32 v44, v12, v43
	v_add_f16_e32 v12, v81, v12
	v_add_f16_e32 v41, v41, v40
	v_fmac_f16_e32 v81, -0.5, v20
	v_sub_f16_e32 v20, v79, v40
	v_fmamk_f16 v40, v44, 0xbaee, v16
	v_add_f16_e32 v12, v12, v43
	v_add_f16_e32 v43, v82, v48
	v_fmac_f16_e32 v16, 0x3aee, v44
	v_fmamk_f16 v44, v20, 0x3aee, v81
	v_add_f16_e32 v79, v45, v82
	v_fmac_f16_e32 v81, 0xbaee, v20
	v_add_f16_e32 v20, v18, v19
	v_fmac_f16_e32 v45, -0.5, v43
	v_sub_f16_e32 v43, v18, v19
	v_add_f16_e32 v18, v84, v18
	v_add_f16_e32 v79, v79, v48
	v_fmac_f16_e32 v84, -0.5, v20
	v_sub_f16_e32 v20, v82, v48
	v_fmamk_f16 v48, v43, 0xbaee, v45
	v_add_f16_e32 v18, v18, v19
	v_add_f16_e32 v19, v47, v46
	v_fmac_f16_e32 v45, 0x3aee, v43
	v_fmamk_f16 v43, v20, 0x3aee, v84
	v_add_f16_e32 v80, v4, v47
	v_fmac_f16_e32 v84, 0xbaee, v20
	v_add_f16_e32 v20, v13, v6
	v_fma_f16 v4, -0.5, v19, v4
	v_sub_f16_e32 v19, v13, v6
	v_add_f16_e32 v13, v92, v13
	v_lshrrev_b32_e32 v76, 16, v5
	v_fmac_f16_e32 v92, -0.5, v20
	v_sub_f16_e32 v20, v47, v46
	v_add_f16_e32 v3, v3, v88
	v_add_f16_e32 v6, v13, v6
	;; [unrolled: 1-line block ×4, first 2 shown]
	v_fmamk_f16 v46, v19, 0xbaee, v4
	v_fmac_f16_e32 v4, 0x3aee, v19
	v_fmamk_f16 v19, v20, 0x3aee, v92
	v_fmac_f16_e32 v92, 0xbaee, v20
	v_add_f16_e32 v20, v2, v7
	v_add_f16_e32 v47, v5, v59
	v_fmac_f16_e32 v5, -0.5, v13
	v_sub_f16_e32 v13, v2, v7
	v_add_f16_e32 v2, v76, v2
	v_fmac_f16_e32 v76, -0.5, v20
	v_sub_f16_e32 v20, v59, v14
	v_add_f16_e32 v14, v47, v14
	v_fmamk_f16 v47, v13, 0xbaee, v5
	v_fmac_f16_e32 v5, 0x3aee, v13
	v_pack_b32_f16 v3, v3, v21
	v_pack_b32_f16 v13, v57, v22
	v_add_f16_e32 v2, v2, v7
	v_fmamk_f16 v7, v20, 0x3aee, v76
	v_fmac_f16_e32 v76, 0xbaee, v20
	global_wb scope:SCOPE_SE
	s_barrier_signal -1
	s_barrier_wait -1
	global_inv scope:SCOPE_SE
	v_pack_b32_f16 v20, v42, v49
	ds_store_2addr_b32 v60, v3, v13 offset1:90
	v_pack_b32_f16 v3, v50, v51
	v_pack_b32_f16 v0, v15, v0
	;; [unrolled: 1-line block ×9, first 2 shown]
	ds_store_2addr_b32 v25, v20, v3 offset0:132 offset1:222
	ds_store_2addr_b32 v61, v0, v13 offset0:8 offset1:98
	ds_store_2addr_b32 v62, v15, v8 offset0:52 offset1:142
	ds_store_2addr_b32 v63, v21, v23 offset0:56 offset1:146
	ds_store_2addr_b32 v64, v22, v30 offset0:60 offset1:150
	v_pack_b32_f16 v0, v56, v10
	v_pack_b32_f16 v3, v74, v11
	v_pack_b32_f16 v8, v36, v38
	v_pack_b32_f16 v10, v37, v17
	v_pack_b32_f16 v9, v9, v75
	v_pack_b32_f16 v11, v39, v78
	ds_store_2addr_b32 v65, v0, v3 offset0:104 offset1:194
	v_pack_b32_f16 v0, v41, v12
	v_pack_b32_f16 v3, v79, v18
	ds_store_2addr_b32 v66, v8, v10 offset0:108 offset1:198
	ds_store_2addr_b32 v67, v9, v11 offset0:112 offset1:202
	v_pack_b32_f16 v8, v40, v44
	v_pack_b32_f16 v9, v16, v81
	;; [unrolled: 1-line block ×3, first 2 shown]
	ds_store_2addr_b32 v70, v0, v3 offset0:28 offset1:118
	v_pack_b32_f16 v0, v48, v43
	v_pack_b32_f16 v3, v45, v84
	;; [unrolled: 1-line block ×7, first 2 shown]
	ds_store_2addr_b32 v68, v8, v0 offset0:160 offset1:250
	ds_store_2addr_b32 v69, v9, v3 offset0:36 offset1:126
	;; [unrolled: 1-line block ×5, first 2 shown]
	global_wb scope:SCOPE_SE
	s_wait_dscnt 0x0
	s_barrier_signal -1
	s_barrier_wait -1
	global_inv scope:SCOPE_SE
	s_and_saveexec_b32 s0, vcc_lo
	s_cbranch_execz .LBB0_21
; %bb.20:
	v_mul_lo_u32 v0, s3, v28
	v_mul_lo_u32 v4, s2, v29
	v_mad_co_u64_u32 v[2:3], null, s2, v28, 0
	v_mov_b32_e32 v25, v1
	v_lshl_add_u32 v29, v24, 2, 0
	s_delay_alu instid0(VALU_DEP_1) | instskip(NEXT) | instid1(VALU_DEP_4)
	v_add_nc_u32_e32 v12, 0x200, v29
	v_add3_u32 v3, v3, v4, v0
	v_add_nc_u32_e32 v0, 0x5a, v24
	v_lshlrev_b64_e32 v[4:5], 2, v[26:27]
	v_lshlrev_b64_e32 v[8:9], 2, v[24:25]
	v_add_nc_u32_e32 v16, 0x400, v29
	v_lshlrev_b64_e32 v[2:3], 2, v[2:3]
	v_lshlrev_b64_e32 v[10:11], 2, v[0:1]
	v_add_nc_u32_e32 v0, 0xb4, v24
	ds_load_2addr_b32 v[6:7], v29 offset1:90
	v_add_nc_u32_e32 v22, 0x800, v29
	ds_load_2addr_b32 v[16:17], v16 offset0:104 offset1:194
	v_add_co_u32 v13, vcc_lo, s6, v2
	s_wait_alu 0xfffd
	v_add_co_ci_u32_e32 v14, vcc_lo, s7, v3, vcc_lo
	v_lshlrev_b64_e32 v[2:3], 2, v[0:1]
	s_delay_alu instid0(VALU_DEP_3) | instskip(SKIP_1) | instid1(VALU_DEP_3)
	v_add_co_u32 v30, vcc_lo, v13, v4
	s_wait_alu 0xfffd
	v_add_co_ci_u32_e32 v31, vcc_lo, v14, v5, vcc_lo
	v_add_nc_u32_e32 v0, 0x10e, v24
	s_delay_alu instid0(VALU_DEP_3) | instskip(SKIP_1) | instid1(VALU_DEP_3)
	v_add_co_u32 v4, vcc_lo, v30, v8
	s_wait_alu 0xfffd
	v_add_co_ci_u32_e32 v5, vcc_lo, v31, v9, vcc_lo
	v_add_co_u32 v8, vcc_lo, v30, v10
	s_wait_alu 0xfffd
	v_add_co_ci_u32_e32 v9, vcc_lo, v31, v11, vcc_lo
	ds_load_2addr_b32 v[10:11], v12 offset0:52 offset1:142
	v_lshlrev_b64_e32 v[12:13], 2, v[0:1]
	v_add_nc_u32_e32 v0, 0x168, v24
	v_add_co_u32 v2, vcc_lo, v30, v2
	s_wait_alu 0xfffd
	v_add_co_ci_u32_e32 v3, vcc_lo, v31, v3, vcc_lo
	s_delay_alu instid0(VALU_DEP_3)
	v_lshlrev_b64_e32 v[14:15], 2, v[0:1]
	v_add_nc_u32_e32 v0, 0x1c2, v24
	v_add_co_u32 v12, vcc_lo, v30, v12
	ds_load_2addr_b32 v[22:23], v22 offset0:28 offset1:118
	s_wait_alu 0xfffd
	v_add_co_ci_u32_e32 v13, vcc_lo, v31, v13, vcc_lo
	v_lshlrev_b64_e32 v[18:19], 2, v[0:1]
	v_add_nc_u32_e32 v0, 0x21c, v24
	v_add_co_u32 v14, vcc_lo, v30, v14
	s_wait_alu 0xfffd
	v_add_co_ci_u32_e32 v15, vcc_lo, v31, v15, vcc_lo
	s_delay_alu instid0(VALU_DEP_3) | instskip(SKIP_4) | instid1(VALU_DEP_3)
	v_lshlrev_b64_e32 v[20:21], 2, v[0:1]
	v_add_nc_u32_e32 v0, 0x276, v24
	v_add_co_u32 v18, vcc_lo, v30, v18
	s_wait_alu 0xfffd
	v_add_co_ci_u32_e32 v19, vcc_lo, v31, v19, vcc_lo
	v_lshlrev_b64_e32 v[25:26], 2, v[0:1]
	v_add_nc_u32_e32 v0, 0x2d0, v24
	v_add_co_u32 v20, vcc_lo, v30, v20
	s_wait_alu 0xfffd
	v_add_co_ci_u32_e32 v21, vcc_lo, v31, v21, vcc_lo
	s_delay_alu instid0(VALU_DEP_3)
	v_lshlrev_b64_e32 v[27:28], 2, v[0:1]
	v_add_nc_u32_e32 v0, 0x32a, v24
	v_add_co_u32 v25, vcc_lo, v30, v25
	s_wait_alu 0xfffd
	v_add_co_ci_u32_e32 v26, vcc_lo, v31, v26, vcc_lo
	s_wait_dscnt 0x3
	s_clause 0x1
	global_store_b32 v[4:5], v6, off
	global_store_b32 v[8:9], v7, off
	s_wait_dscnt 0x1
	s_clause 0x3
	global_store_b32 v[2:3], v10, off
	global_store_b32 v[12:13], v11, off
	;; [unrolled: 1-line block ×4, first 2 shown]
	s_wait_dscnt 0x0
	s_clause 0x1
	global_store_b32 v[20:21], v22, off
	global_store_b32 v[25:26], v23, off
	v_lshlrev_b64_e32 v[4:5], 2, v[0:1]
	v_add_nc_u32_e32 v0, 0x384, v24
	v_add_nc_u32_e32 v32, 0xa00, v29
	v_add_co_u32 v6, vcc_lo, v30, v27
	v_add_nc_u32_e32 v10, 0xc00, v29
	s_delay_alu instid0(VALU_DEP_4)
	v_lshlrev_b64_e32 v[8:9], 2, v[0:1]
	v_add_nc_u32_e32 v0, 0x3de, v24
	s_wait_alu 0xfffd
	v_add_co_ci_u32_e32 v7, vcc_lo, v31, v28, vcc_lo
	v_add_nc_u32_e32 v16, 0x1000, v29
	ds_load_2addr_b32 v[2:3], v32 offset0:80 offset1:170
	v_lshlrev_b64_e32 v[12:13], 2, v[0:1]
	v_add_nc_u32_e32 v0, 0x438, v24
	v_add_co_u32 v4, vcc_lo, v30, v4
	v_add_nc_u32_e32 v22, 0x1200, v29
	s_wait_alu 0xfffd
	v_add_co_ci_u32_e32 v5, vcc_lo, v31, v5, vcc_lo
	v_lshlrev_b64_e32 v[14:15], 2, v[0:1]
	v_add_nc_u32_e32 v0, 0x492, v24
	ds_load_2addr_b32 v[10:11], v10 offset0:132 offset1:222
	v_add_co_u32 v8, vcc_lo, v30, v8
	ds_load_2addr_b32 v[16:17], v16 offset0:56 offset1:146
	v_lshlrev_b64_e32 v[18:19], 2, v[0:1]
	v_add_nc_u32_e32 v0, 0x4ec, v24
	s_wait_alu 0xfffd
	v_add_co_ci_u32_e32 v9, vcc_lo, v31, v9, vcc_lo
	v_add_co_u32 v12, vcc_lo, v30, v12
	s_delay_alu instid0(VALU_DEP_3)
	v_lshlrev_b64_e32 v[20:21], 2, v[0:1]
	v_add_nc_u32_e32 v0, 0x546, v24
	ds_load_2addr_b32 v[22:23], v22 offset0:108 offset1:198
	s_wait_alu 0xfffd
	v_add_co_ci_u32_e32 v13, vcc_lo, v31, v13, vcc_lo
	v_add_co_u32 v14, vcc_lo, v30, v14
	v_lshlrev_b64_e32 v[25:26], 2, v[0:1]
	v_add_nc_u32_e32 v0, 0x5a0, v24
	s_wait_alu 0xfffd
	v_add_co_ci_u32_e32 v15, vcc_lo, v31, v15, vcc_lo
	v_add_co_u32 v18, vcc_lo, v30, v18
	s_wait_alu 0xfffd
	v_add_co_ci_u32_e32 v19, vcc_lo, v31, v19, vcc_lo
	v_add_co_u32 v20, vcc_lo, v30, v20
	v_lshlrev_b64_e32 v[27:28], 2, v[0:1]
	v_add_nc_u32_e32 v0, 0x5fa, v24
	s_wait_alu 0xfffd
	v_add_co_ci_u32_e32 v21, vcc_lo, v31, v21, vcc_lo
	v_add_co_u32 v25, vcc_lo, v30, v25
	s_wait_alu 0xfffd
	v_add_co_ci_u32_e32 v26, vcc_lo, v31, v26, vcc_lo
	s_wait_dscnt 0x3
	s_clause 0x1
	global_store_b32 v[6:7], v2, off
	global_store_b32 v[4:5], v3, off
	s_wait_dscnt 0x2
	s_clause 0x1
	global_store_b32 v[8:9], v10, off
	global_store_b32 v[12:13], v11, off
	;; [unrolled: 4-line block ×4, first 2 shown]
	v_lshlrev_b64_e32 v[4:5], 2, v[0:1]
	v_add_nc_u32_e32 v0, 0x654, v24
	v_add_nc_u32_e32 v32, 0x1400, v29
	v_add_co_u32 v6, vcc_lo, v30, v27
	v_add_nc_u32_e32 v10, 0x1800, v29
	s_delay_alu instid0(VALU_DEP_4)
	v_lshlrev_b64_e32 v[8:9], 2, v[0:1]
	v_add_nc_u32_e32 v0, 0x6ae, v24
	s_wait_alu 0xfffd
	v_add_co_ci_u32_e32 v7, vcc_lo, v31, v28, vcc_lo
	v_add_nc_u32_e32 v16, 0x1c00, v29
	ds_load_2addr_b32 v[2:3], v32 offset0:160 offset1:250
	v_lshlrev_b64_e32 v[12:13], 2, v[0:1]
	v_add_nc_u32_e32 v0, 0x708, v24
	v_add_co_u32 v4, vcc_lo, v30, v4
	v_add_nc_u32_e32 v22, 0x1e00, v29
	s_wait_alu 0xfffd
	v_add_co_ci_u32_e32 v5, vcc_lo, v31, v5, vcc_lo
	v_lshlrev_b64_e32 v[14:15], 2, v[0:1]
	v_add_nc_u32_e32 v0, 0x762, v24
	ds_load_2addr_b32 v[10:11], v10 offset0:84 offset1:174
	v_add_co_u32 v8, vcc_lo, v30, v8
	ds_load_2addr_b32 v[16:17], v16 offset0:8 offset1:98
	v_lshlrev_b64_e32 v[18:19], 2, v[0:1]
	v_add_nc_u32_e32 v0, 0x7bc, v24
	s_wait_alu 0xfffd
	v_add_co_ci_u32_e32 v9, vcc_lo, v31, v9, vcc_lo
	v_add_co_u32 v12, vcc_lo, v30, v12
	s_delay_alu instid0(VALU_DEP_3)
	v_lshlrev_b64_e32 v[20:21], 2, v[0:1]
	v_add_nc_u32_e32 v0, 0x816, v24
	ds_load_2addr_b32 v[22:23], v22 offset0:60 offset1:150
	s_wait_alu 0xfffd
	v_add_co_ci_u32_e32 v13, vcc_lo, v31, v13, vcc_lo
	v_add_co_u32 v14, vcc_lo, v30, v14
	v_lshlrev_b64_e32 v[25:26], 2, v[0:1]
	v_add_nc_u32_e32 v0, 0x870, v24
	s_wait_alu 0xfffd
	v_add_co_ci_u32_e32 v15, vcc_lo, v31, v15, vcc_lo
	v_add_co_u32 v18, vcc_lo, v30, v18
	s_wait_alu 0xfffd
	v_add_co_ci_u32_e32 v19, vcc_lo, v31, v19, vcc_lo
	v_add_co_u32 v20, vcc_lo, v30, v20
	v_lshlrev_b64_e32 v[27:28], 2, v[0:1]
	v_add_nc_u32_e32 v0, 0x8ca, v24
	s_wait_alu 0xfffd
	v_add_co_ci_u32_e32 v21, vcc_lo, v31, v21, vcc_lo
	v_add_co_u32 v25, vcc_lo, v30, v25
	s_wait_alu 0xfffd
	v_add_co_ci_u32_e32 v26, vcc_lo, v31, v26, vcc_lo
	s_wait_dscnt 0x3
	s_clause 0x1
	global_store_b32 v[6:7], v2, off
	global_store_b32 v[4:5], v3, off
	s_wait_dscnt 0x2
	s_clause 0x1
	global_store_b32 v[8:9], v10, off
	global_store_b32 v[12:13], v11, off
	;; [unrolled: 4-line block ×4, first 2 shown]
	v_lshlrev_b64_e32 v[4:5], 2, v[0:1]
	v_add_nc_u32_e32 v0, 0x924, v24
	v_add_nc_u32_e32 v32, 0x2000, v29
	v_add_nc_u32_e32 v10, 0x2400, v29
	v_add_nc_u32_e32 v14, 0x2600, v29
	v_add_co_u32 v6, vcc_lo, v30, v27
	v_lshlrev_b64_e32 v[8:9], 2, v[0:1]
	v_add_nc_u32_e32 v0, 0x97e, v24
	ds_load_2addr_b32 v[2:3], v32 offset0:112 offset1:202
	ds_load_2addr_b32 v[10:11], v10 offset0:36 offset1:126
	;; [unrolled: 1-line block ×3, first 2 shown]
	s_wait_alu 0xfffd
	v_add_co_ci_u32_e32 v7, vcc_lo, v31, v28, vcc_lo
	v_lshlrev_b64_e32 v[12:13], 2, v[0:1]
	v_add_nc_u32_e32 v0, 0x9d8, v24
	v_add_co_u32 v4, vcc_lo, v30, v4
	s_wait_alu 0xfffd
	v_add_co_ci_u32_e32 v5, vcc_lo, v31, v5, vcc_lo
	s_delay_alu instid0(VALU_DEP_3)
	v_lshlrev_b64_e32 v[16:17], 2, v[0:1]
	v_add_nc_u32_e32 v0, 0xa32, v24
	v_add_co_u32 v8, vcc_lo, v30, v8
	s_wait_alu 0xfffd
	v_add_co_ci_u32_e32 v9, vcc_lo, v31, v9, vcc_lo
	v_add_co_u32 v12, vcc_lo, v30, v12
	v_lshlrev_b64_e32 v[0:1], 2, v[0:1]
	s_wait_alu 0xfffd
	v_add_co_ci_u32_e32 v13, vcc_lo, v31, v13, vcc_lo
	v_add_co_u32 v16, vcc_lo, v30, v16
	s_wait_alu 0xfffd
	v_add_co_ci_u32_e32 v17, vcc_lo, v31, v17, vcc_lo
	v_add_co_u32 v0, vcc_lo, v30, v0
	s_wait_alu 0xfffd
	v_add_co_ci_u32_e32 v1, vcc_lo, v31, v1, vcc_lo
	s_wait_dscnt 0x2
	s_clause 0x1
	global_store_b32 v[6:7], v2, off
	global_store_b32 v[4:5], v3, off
	s_wait_dscnt 0x1
	s_clause 0x1
	global_store_b32 v[8:9], v10, off
	global_store_b32 v[12:13], v11, off
	;; [unrolled: 4-line block ×3, first 2 shown]
.LBB0_21:
	s_nop 0
	s_sendmsg sendmsg(MSG_DEALLOC_VGPRS)
	s_endpgm
	.section	.rodata,"a",@progbits
	.p2align	6, 0x0
	.amdhsa_kernel fft_rtc_back_len2700_factors_3_10_10_3_3_wgs_90_tpt_90_halfLds_half_op_CI_CI_unitstride_sbrr_C2R_dirReg
		.amdhsa_group_segment_fixed_size 0
		.amdhsa_private_segment_fixed_size 0
		.amdhsa_kernarg_size 104
		.amdhsa_user_sgpr_count 2
		.amdhsa_user_sgpr_dispatch_ptr 0
		.amdhsa_user_sgpr_queue_ptr 0
		.amdhsa_user_sgpr_kernarg_segment_ptr 1
		.amdhsa_user_sgpr_dispatch_id 0
		.amdhsa_user_sgpr_private_segment_size 0
		.amdhsa_wavefront_size32 1
		.amdhsa_uses_dynamic_stack 0
		.amdhsa_enable_private_segment 0
		.amdhsa_system_sgpr_workgroup_id_x 1
		.amdhsa_system_sgpr_workgroup_id_y 0
		.amdhsa_system_sgpr_workgroup_id_z 0
		.amdhsa_system_sgpr_workgroup_info 0
		.amdhsa_system_vgpr_workitem_id 0
		.amdhsa_next_free_vgpr 145
		.amdhsa_next_free_sgpr 39
		.amdhsa_reserve_vcc 1
		.amdhsa_float_round_mode_32 0
		.amdhsa_float_round_mode_16_64 0
		.amdhsa_float_denorm_mode_32 3
		.amdhsa_float_denorm_mode_16_64 3
		.amdhsa_fp16_overflow 0
		.amdhsa_workgroup_processor_mode 1
		.amdhsa_memory_ordered 1
		.amdhsa_forward_progress 0
		.amdhsa_round_robin_scheduling 0
		.amdhsa_exception_fp_ieee_invalid_op 0
		.amdhsa_exception_fp_denorm_src 0
		.amdhsa_exception_fp_ieee_div_zero 0
		.amdhsa_exception_fp_ieee_overflow 0
		.amdhsa_exception_fp_ieee_underflow 0
		.amdhsa_exception_fp_ieee_inexact 0
		.amdhsa_exception_int_div_zero 0
	.end_amdhsa_kernel
	.text
.Lfunc_end0:
	.size	fft_rtc_back_len2700_factors_3_10_10_3_3_wgs_90_tpt_90_halfLds_half_op_CI_CI_unitstride_sbrr_C2R_dirReg, .Lfunc_end0-fft_rtc_back_len2700_factors_3_10_10_3_3_wgs_90_tpt_90_halfLds_half_op_CI_CI_unitstride_sbrr_C2R_dirReg
                                        ; -- End function
	.section	.AMDGPU.csdata,"",@progbits
; Kernel info:
; codeLenInByte = 22888
; NumSgprs: 41
; NumVgprs: 145
; ScratchSize: 0
; MemoryBound: 0
; FloatMode: 240
; IeeeMode: 1
; LDSByteSize: 0 bytes/workgroup (compile time only)
; SGPRBlocks: 5
; VGPRBlocks: 18
; NumSGPRsForWavesPerEU: 41
; NumVGPRsForWavesPerEU: 145
; Occupancy: 9
; WaveLimiterHint : 1
; COMPUTE_PGM_RSRC2:SCRATCH_EN: 0
; COMPUTE_PGM_RSRC2:USER_SGPR: 2
; COMPUTE_PGM_RSRC2:TRAP_HANDLER: 0
; COMPUTE_PGM_RSRC2:TGID_X_EN: 1
; COMPUTE_PGM_RSRC2:TGID_Y_EN: 0
; COMPUTE_PGM_RSRC2:TGID_Z_EN: 0
; COMPUTE_PGM_RSRC2:TIDIG_COMP_CNT: 0
	.text
	.p2alignl 7, 3214868480
	.fill 96, 4, 3214868480
	.type	__hip_cuid_b41df60a92087343,@object ; @__hip_cuid_b41df60a92087343
	.section	.bss,"aw",@nobits
	.globl	__hip_cuid_b41df60a92087343
__hip_cuid_b41df60a92087343:
	.byte	0                               ; 0x0
	.size	__hip_cuid_b41df60a92087343, 1

	.ident	"AMD clang version 19.0.0git (https://github.com/RadeonOpenCompute/llvm-project roc-6.4.0 25133 c7fe45cf4b819c5991fe208aaa96edf142730f1d)"
	.section	".note.GNU-stack","",@progbits
	.addrsig
	.addrsig_sym __hip_cuid_b41df60a92087343
	.amdgpu_metadata
---
amdhsa.kernels:
  - .args:
      - .actual_access:  read_only
        .address_space:  global
        .offset:         0
        .size:           8
        .value_kind:     global_buffer
      - .offset:         8
        .size:           8
        .value_kind:     by_value
      - .actual_access:  read_only
        .address_space:  global
        .offset:         16
        .size:           8
        .value_kind:     global_buffer
      - .actual_access:  read_only
        .address_space:  global
        .offset:         24
        .size:           8
        .value_kind:     global_buffer
      - .actual_access:  read_only
        .address_space:  global
        .offset:         32
        .size:           8
        .value_kind:     global_buffer
      - .offset:         40
        .size:           8
        .value_kind:     by_value
      - .actual_access:  read_only
        .address_space:  global
        .offset:         48
        .size:           8
        .value_kind:     global_buffer
      - .actual_access:  read_only
        .address_space:  global
        .offset:         56
        .size:           8
        .value_kind:     global_buffer
      - .offset:         64
        .size:           4
        .value_kind:     by_value
      - .actual_access:  read_only
        .address_space:  global
        .offset:         72
        .size:           8
        .value_kind:     global_buffer
      - .actual_access:  read_only
        .address_space:  global
        .offset:         80
        .size:           8
        .value_kind:     global_buffer
      - .actual_access:  read_only
        .address_space:  global
        .offset:         88
        .size:           8
        .value_kind:     global_buffer
      - .actual_access:  write_only
        .address_space:  global
        .offset:         96
        .size:           8
        .value_kind:     global_buffer
    .group_segment_fixed_size: 0
    .kernarg_segment_align: 8
    .kernarg_segment_size: 104
    .language:       OpenCL C
    .language_version:
      - 2
      - 0
    .max_flat_workgroup_size: 90
    .name:           fft_rtc_back_len2700_factors_3_10_10_3_3_wgs_90_tpt_90_halfLds_half_op_CI_CI_unitstride_sbrr_C2R_dirReg
    .private_segment_fixed_size: 0
    .sgpr_count:     41
    .sgpr_spill_count: 0
    .symbol:         fft_rtc_back_len2700_factors_3_10_10_3_3_wgs_90_tpt_90_halfLds_half_op_CI_CI_unitstride_sbrr_C2R_dirReg.kd
    .uniform_work_group_size: 1
    .uses_dynamic_stack: false
    .vgpr_count:     145
    .vgpr_spill_count: 0
    .wavefront_size: 32
    .workgroup_processor_mode: 1
amdhsa.target:   amdgcn-amd-amdhsa--gfx1201
amdhsa.version:
  - 1
  - 2
...

	.end_amdgpu_metadata
